;; amdgpu-corpus repo=ROCm/rocSOLVER kind=compiled arch=gfx1250 opt=O3
	.amdgcn_target "amdgcn-amd-amdhsa--gfx1250"
	.amdhsa_code_object_version 6
	.section	.text._ZN9rocsolver6v33100L16mfma_gemm_kernelI19rocblas_complex_numIfEiPKS3_PS3_S6_S6_EEv18rocblas_operation_S7_T0_S8_S8_T1_T2_lS8_S8_lT3_lS8_S8_lS9_T4_lS8_S8_l,"axG",@progbits,_ZN9rocsolver6v33100L16mfma_gemm_kernelI19rocblas_complex_numIfEiPKS3_PS3_S6_S6_EEv18rocblas_operation_S7_T0_S8_S8_T1_T2_lS8_S8_lT3_lS8_S8_lS9_T4_lS8_S8_l,comdat
	.globl	_ZN9rocsolver6v33100L16mfma_gemm_kernelI19rocblas_complex_numIfEiPKS3_PS3_S6_S6_EEv18rocblas_operation_S7_T0_S8_S8_T1_T2_lS8_S8_lT3_lS8_S8_lS9_T4_lS8_S8_l ; -- Begin function _ZN9rocsolver6v33100L16mfma_gemm_kernelI19rocblas_complex_numIfEiPKS3_PS3_S6_S6_EEv18rocblas_operation_S7_T0_S8_S8_T1_T2_lS8_S8_lT3_lS8_S8_lS9_T4_lS8_S8_l
	.p2align	8
	.type	_ZN9rocsolver6v33100L16mfma_gemm_kernelI19rocblas_complex_numIfEiPKS3_PS3_S6_S6_EEv18rocblas_operation_S7_T0_S8_S8_T1_T2_lS8_S8_lT3_lS8_S8_lS9_T4_lS8_S8_l,@function
_ZN9rocsolver6v33100L16mfma_gemm_kernelI19rocblas_complex_numIfEiPKS3_PS3_S6_S6_EEv18rocblas_operation_S7_T0_S8_S8_T1_T2_lS8_S8_lT3_lS8_S8_lS9_T4_lS8_S8_l: ; @_ZN9rocsolver6v33100L16mfma_gemm_kernelI19rocblas_complex_numIfEiPKS3_PS3_S6_S6_EEv18rocblas_operation_S7_T0_S8_S8_T1_T2_lS8_S8_lT3_lS8_S8_lS9_T4_lS8_S8_l
; %bb.0:
	s_endpgm
	.section	.rodata,"a",@progbits
	.p2align	6, 0x0
	.amdhsa_kernel _ZN9rocsolver6v33100L16mfma_gemm_kernelI19rocblas_complex_numIfEiPKS3_PS3_S6_S6_EEv18rocblas_operation_S7_T0_S8_S8_T1_T2_lS8_S8_lT3_lS8_S8_lS9_T4_lS8_S8_l
		.amdhsa_group_segment_fixed_size 0
		.amdhsa_private_segment_fixed_size 0
		.amdhsa_kernarg_size 136
		.amdhsa_user_sgpr_count 2
		.amdhsa_user_sgpr_dispatch_ptr 0
		.amdhsa_user_sgpr_queue_ptr 0
		.amdhsa_user_sgpr_kernarg_segment_ptr 1
		.amdhsa_user_sgpr_dispatch_id 0
		.amdhsa_user_sgpr_kernarg_preload_length 0
		.amdhsa_user_sgpr_kernarg_preload_offset 0
		.amdhsa_user_sgpr_private_segment_size 0
		.amdhsa_wavefront_size32 1
		.amdhsa_uses_dynamic_stack 0
		.amdhsa_enable_private_segment 0
		.amdhsa_system_sgpr_workgroup_id_x 1
		.amdhsa_system_sgpr_workgroup_id_y 0
		.amdhsa_system_sgpr_workgroup_id_z 0
		.amdhsa_system_sgpr_workgroup_info 0
		.amdhsa_system_vgpr_workitem_id 0
		.amdhsa_next_free_vgpr 1
		.amdhsa_next_free_sgpr 1
		.amdhsa_named_barrier_count 0
		.amdhsa_reserve_vcc 0
		.amdhsa_float_round_mode_32 0
		.amdhsa_float_round_mode_16_64 0
		.amdhsa_float_denorm_mode_32 3
		.amdhsa_float_denorm_mode_16_64 3
		.amdhsa_fp16_overflow 0
		.amdhsa_memory_ordered 1
		.amdhsa_forward_progress 1
		.amdhsa_inst_pref_size 1
		.amdhsa_round_robin_scheduling 0
		.amdhsa_exception_fp_ieee_invalid_op 0
		.amdhsa_exception_fp_denorm_src 0
		.amdhsa_exception_fp_ieee_div_zero 0
		.amdhsa_exception_fp_ieee_overflow 0
		.amdhsa_exception_fp_ieee_underflow 0
		.amdhsa_exception_fp_ieee_inexact 0
		.amdhsa_exception_int_div_zero 0
	.end_amdhsa_kernel
	.section	.text._ZN9rocsolver6v33100L16mfma_gemm_kernelI19rocblas_complex_numIfEiPKS3_PS3_S6_S6_EEv18rocblas_operation_S7_T0_S8_S8_T1_T2_lS8_S8_lT3_lS8_S8_lS9_T4_lS8_S8_l,"axG",@progbits,_ZN9rocsolver6v33100L16mfma_gemm_kernelI19rocblas_complex_numIfEiPKS3_PS3_S6_S6_EEv18rocblas_operation_S7_T0_S8_S8_T1_T2_lS8_S8_lT3_lS8_S8_lS9_T4_lS8_S8_l,comdat
.Lfunc_end0:
	.size	_ZN9rocsolver6v33100L16mfma_gemm_kernelI19rocblas_complex_numIfEiPKS3_PS3_S6_S6_EEv18rocblas_operation_S7_T0_S8_S8_T1_T2_lS8_S8_lT3_lS8_S8_lS9_T4_lS8_S8_l, .Lfunc_end0-_ZN9rocsolver6v33100L16mfma_gemm_kernelI19rocblas_complex_numIfEiPKS3_PS3_S6_S6_EEv18rocblas_operation_S7_T0_S8_S8_T1_T2_lS8_S8_lT3_lS8_S8_lS9_T4_lS8_S8_l
                                        ; -- End function
	.set _ZN9rocsolver6v33100L16mfma_gemm_kernelI19rocblas_complex_numIfEiPKS3_PS3_S6_S6_EEv18rocblas_operation_S7_T0_S8_S8_T1_T2_lS8_S8_lT3_lS8_S8_lS9_T4_lS8_S8_l.num_vgpr, 0
	.set _ZN9rocsolver6v33100L16mfma_gemm_kernelI19rocblas_complex_numIfEiPKS3_PS3_S6_S6_EEv18rocblas_operation_S7_T0_S8_S8_T1_T2_lS8_S8_lT3_lS8_S8_lS9_T4_lS8_S8_l.num_agpr, 0
	.set _ZN9rocsolver6v33100L16mfma_gemm_kernelI19rocblas_complex_numIfEiPKS3_PS3_S6_S6_EEv18rocblas_operation_S7_T0_S8_S8_T1_T2_lS8_S8_lT3_lS8_S8_lS9_T4_lS8_S8_l.numbered_sgpr, 0
	.set _ZN9rocsolver6v33100L16mfma_gemm_kernelI19rocblas_complex_numIfEiPKS3_PS3_S6_S6_EEv18rocblas_operation_S7_T0_S8_S8_T1_T2_lS8_S8_lT3_lS8_S8_lS9_T4_lS8_S8_l.num_named_barrier, 0
	.set _ZN9rocsolver6v33100L16mfma_gemm_kernelI19rocblas_complex_numIfEiPKS3_PS3_S6_S6_EEv18rocblas_operation_S7_T0_S8_S8_T1_T2_lS8_S8_lT3_lS8_S8_lS9_T4_lS8_S8_l.private_seg_size, 0
	.set _ZN9rocsolver6v33100L16mfma_gemm_kernelI19rocblas_complex_numIfEiPKS3_PS3_S6_S6_EEv18rocblas_operation_S7_T0_S8_S8_T1_T2_lS8_S8_lT3_lS8_S8_lS9_T4_lS8_S8_l.uses_vcc, 0
	.set _ZN9rocsolver6v33100L16mfma_gemm_kernelI19rocblas_complex_numIfEiPKS3_PS3_S6_S6_EEv18rocblas_operation_S7_T0_S8_S8_T1_T2_lS8_S8_lT3_lS8_S8_lS9_T4_lS8_S8_l.uses_flat_scratch, 0
	.set _ZN9rocsolver6v33100L16mfma_gemm_kernelI19rocblas_complex_numIfEiPKS3_PS3_S6_S6_EEv18rocblas_operation_S7_T0_S8_S8_T1_T2_lS8_S8_lT3_lS8_S8_lS9_T4_lS8_S8_l.has_dyn_sized_stack, 0
	.set _ZN9rocsolver6v33100L16mfma_gemm_kernelI19rocblas_complex_numIfEiPKS3_PS3_S6_S6_EEv18rocblas_operation_S7_T0_S8_S8_T1_T2_lS8_S8_lT3_lS8_S8_lS9_T4_lS8_S8_l.has_recursion, 0
	.set _ZN9rocsolver6v33100L16mfma_gemm_kernelI19rocblas_complex_numIfEiPKS3_PS3_S6_S6_EEv18rocblas_operation_S7_T0_S8_S8_T1_T2_lS8_S8_lT3_lS8_S8_lS9_T4_lS8_S8_l.has_indirect_call, 0
	.section	.AMDGPU.csdata,"",@progbits
; Kernel info:
; codeLenInByte = 4
; TotalNumSgprs: 0
; NumVgprs: 0
; ScratchSize: 0
; MemoryBound: 0
; FloatMode: 240
; IeeeMode: 1
; LDSByteSize: 0 bytes/workgroup (compile time only)
; SGPRBlocks: 0
; VGPRBlocks: 0
; NumSGPRsForWavesPerEU: 1
; NumVGPRsForWavesPerEU: 1
; NamedBarCnt: 0
; Occupancy: 16
; WaveLimiterHint : 0
; COMPUTE_PGM_RSRC2:SCRATCH_EN: 0
; COMPUTE_PGM_RSRC2:USER_SGPR: 2
; COMPUTE_PGM_RSRC2:TRAP_HANDLER: 0
; COMPUTE_PGM_RSRC2:TGID_X_EN: 1
; COMPUTE_PGM_RSRC2:TGID_Y_EN: 0
; COMPUTE_PGM_RSRC2:TGID_Z_EN: 0
; COMPUTE_PGM_RSRC2:TIDIG_COMP_CNT: 0
	.section	.text._ZN9rocsolver6v33100L16mfma_gemm_kernelI19rocblas_complex_numIfEiS3_PS3_S4_S4_EEv18rocblas_operation_S5_T0_S6_S6_T1_T2_lS6_S6_lT3_lS6_S6_lS7_T4_lS6_S6_l,"axG",@progbits,_ZN9rocsolver6v33100L16mfma_gemm_kernelI19rocblas_complex_numIfEiS3_PS3_S4_S4_EEv18rocblas_operation_S5_T0_S6_S6_T1_T2_lS6_S6_lT3_lS6_S6_lS7_T4_lS6_S6_l,comdat
	.globl	_ZN9rocsolver6v33100L16mfma_gemm_kernelI19rocblas_complex_numIfEiS3_PS3_S4_S4_EEv18rocblas_operation_S5_T0_S6_S6_T1_T2_lS6_S6_lT3_lS6_S6_lS7_T4_lS6_S6_l ; -- Begin function _ZN9rocsolver6v33100L16mfma_gemm_kernelI19rocblas_complex_numIfEiS3_PS3_S4_S4_EEv18rocblas_operation_S5_T0_S6_S6_T1_T2_lS6_S6_lT3_lS6_S6_lS7_T4_lS6_S6_l
	.p2align	8
	.type	_ZN9rocsolver6v33100L16mfma_gemm_kernelI19rocblas_complex_numIfEiS3_PS3_S4_S4_EEv18rocblas_operation_S5_T0_S6_S6_T1_T2_lS6_S6_lT3_lS6_S6_lS7_T4_lS6_S6_l,@function
_ZN9rocsolver6v33100L16mfma_gemm_kernelI19rocblas_complex_numIfEiS3_PS3_S4_S4_EEv18rocblas_operation_S5_T0_S6_S6_T1_T2_lS6_S6_lT3_lS6_S6_lS7_T4_lS6_S6_l: ; @_ZN9rocsolver6v33100L16mfma_gemm_kernelI19rocblas_complex_numIfEiS3_PS3_S4_S4_EEv18rocblas_operation_S5_T0_S6_S6_T1_T2_lS6_S6_lT3_lS6_S6_lS7_T4_lS6_S6_l
; %bb.0:
	s_endpgm
	.section	.rodata,"a",@progbits
	.p2align	6, 0x0
	.amdhsa_kernel _ZN9rocsolver6v33100L16mfma_gemm_kernelI19rocblas_complex_numIfEiS3_PS3_S4_S4_EEv18rocblas_operation_S5_T0_S6_S6_T1_T2_lS6_S6_lT3_lS6_S6_lS7_T4_lS6_S6_l
		.amdhsa_group_segment_fixed_size 0
		.amdhsa_private_segment_fixed_size 0
		.amdhsa_kernarg_size 136
		.amdhsa_user_sgpr_count 2
		.amdhsa_user_sgpr_dispatch_ptr 0
		.amdhsa_user_sgpr_queue_ptr 0
		.amdhsa_user_sgpr_kernarg_segment_ptr 1
		.amdhsa_user_sgpr_dispatch_id 0
		.amdhsa_user_sgpr_kernarg_preload_length 0
		.amdhsa_user_sgpr_kernarg_preload_offset 0
		.amdhsa_user_sgpr_private_segment_size 0
		.amdhsa_wavefront_size32 1
		.amdhsa_uses_dynamic_stack 0
		.amdhsa_enable_private_segment 0
		.amdhsa_system_sgpr_workgroup_id_x 1
		.amdhsa_system_sgpr_workgroup_id_y 0
		.amdhsa_system_sgpr_workgroup_id_z 0
		.amdhsa_system_sgpr_workgroup_info 0
		.amdhsa_system_vgpr_workitem_id 0
		.amdhsa_next_free_vgpr 1
		.amdhsa_next_free_sgpr 1
		.amdhsa_named_barrier_count 0
		.amdhsa_reserve_vcc 0
		.amdhsa_float_round_mode_32 0
		.amdhsa_float_round_mode_16_64 0
		.amdhsa_float_denorm_mode_32 3
		.amdhsa_float_denorm_mode_16_64 3
		.amdhsa_fp16_overflow 0
		.amdhsa_memory_ordered 1
		.amdhsa_forward_progress 1
		.amdhsa_inst_pref_size 1
		.amdhsa_round_robin_scheduling 0
		.amdhsa_exception_fp_ieee_invalid_op 0
		.amdhsa_exception_fp_denorm_src 0
		.amdhsa_exception_fp_ieee_div_zero 0
		.amdhsa_exception_fp_ieee_overflow 0
		.amdhsa_exception_fp_ieee_underflow 0
		.amdhsa_exception_fp_ieee_inexact 0
		.amdhsa_exception_int_div_zero 0
	.end_amdhsa_kernel
	.section	.text._ZN9rocsolver6v33100L16mfma_gemm_kernelI19rocblas_complex_numIfEiS3_PS3_S4_S4_EEv18rocblas_operation_S5_T0_S6_S6_T1_T2_lS6_S6_lT3_lS6_S6_lS7_T4_lS6_S6_l,"axG",@progbits,_ZN9rocsolver6v33100L16mfma_gemm_kernelI19rocblas_complex_numIfEiS3_PS3_S4_S4_EEv18rocblas_operation_S5_T0_S6_S6_T1_T2_lS6_S6_lT3_lS6_S6_lS7_T4_lS6_S6_l,comdat
.Lfunc_end1:
	.size	_ZN9rocsolver6v33100L16mfma_gemm_kernelI19rocblas_complex_numIfEiS3_PS3_S4_S4_EEv18rocblas_operation_S5_T0_S6_S6_T1_T2_lS6_S6_lT3_lS6_S6_lS7_T4_lS6_S6_l, .Lfunc_end1-_ZN9rocsolver6v33100L16mfma_gemm_kernelI19rocblas_complex_numIfEiS3_PS3_S4_S4_EEv18rocblas_operation_S5_T0_S6_S6_T1_T2_lS6_S6_lT3_lS6_S6_lS7_T4_lS6_S6_l
                                        ; -- End function
	.set _ZN9rocsolver6v33100L16mfma_gemm_kernelI19rocblas_complex_numIfEiS3_PS3_S4_S4_EEv18rocblas_operation_S5_T0_S6_S6_T1_T2_lS6_S6_lT3_lS6_S6_lS7_T4_lS6_S6_l.num_vgpr, 0
	.set _ZN9rocsolver6v33100L16mfma_gemm_kernelI19rocblas_complex_numIfEiS3_PS3_S4_S4_EEv18rocblas_operation_S5_T0_S6_S6_T1_T2_lS6_S6_lT3_lS6_S6_lS7_T4_lS6_S6_l.num_agpr, 0
	.set _ZN9rocsolver6v33100L16mfma_gemm_kernelI19rocblas_complex_numIfEiS3_PS3_S4_S4_EEv18rocblas_operation_S5_T0_S6_S6_T1_T2_lS6_S6_lT3_lS6_S6_lS7_T4_lS6_S6_l.numbered_sgpr, 0
	.set _ZN9rocsolver6v33100L16mfma_gemm_kernelI19rocblas_complex_numIfEiS3_PS3_S4_S4_EEv18rocblas_operation_S5_T0_S6_S6_T1_T2_lS6_S6_lT3_lS6_S6_lS7_T4_lS6_S6_l.num_named_barrier, 0
	.set _ZN9rocsolver6v33100L16mfma_gemm_kernelI19rocblas_complex_numIfEiS3_PS3_S4_S4_EEv18rocblas_operation_S5_T0_S6_S6_T1_T2_lS6_S6_lT3_lS6_S6_lS7_T4_lS6_S6_l.private_seg_size, 0
	.set _ZN9rocsolver6v33100L16mfma_gemm_kernelI19rocblas_complex_numIfEiS3_PS3_S4_S4_EEv18rocblas_operation_S5_T0_S6_S6_T1_T2_lS6_S6_lT3_lS6_S6_lS7_T4_lS6_S6_l.uses_vcc, 0
	.set _ZN9rocsolver6v33100L16mfma_gemm_kernelI19rocblas_complex_numIfEiS3_PS3_S4_S4_EEv18rocblas_operation_S5_T0_S6_S6_T1_T2_lS6_S6_lT3_lS6_S6_lS7_T4_lS6_S6_l.uses_flat_scratch, 0
	.set _ZN9rocsolver6v33100L16mfma_gemm_kernelI19rocblas_complex_numIfEiS3_PS3_S4_S4_EEv18rocblas_operation_S5_T0_S6_S6_T1_T2_lS6_S6_lT3_lS6_S6_lS7_T4_lS6_S6_l.has_dyn_sized_stack, 0
	.set _ZN9rocsolver6v33100L16mfma_gemm_kernelI19rocblas_complex_numIfEiS3_PS3_S4_S4_EEv18rocblas_operation_S5_T0_S6_S6_T1_T2_lS6_S6_lT3_lS6_S6_lS7_T4_lS6_S6_l.has_recursion, 0
	.set _ZN9rocsolver6v33100L16mfma_gemm_kernelI19rocblas_complex_numIfEiS3_PS3_S4_S4_EEv18rocblas_operation_S5_T0_S6_S6_T1_T2_lS6_S6_lT3_lS6_S6_lS7_T4_lS6_S6_l.has_indirect_call, 0
	.section	.AMDGPU.csdata,"",@progbits
; Kernel info:
; codeLenInByte = 4
; TotalNumSgprs: 0
; NumVgprs: 0
; ScratchSize: 0
; MemoryBound: 0
; FloatMode: 240
; IeeeMode: 1
; LDSByteSize: 0 bytes/workgroup (compile time only)
; SGPRBlocks: 0
; VGPRBlocks: 0
; NumSGPRsForWavesPerEU: 1
; NumVGPRsForWavesPerEU: 1
; NamedBarCnt: 0
; Occupancy: 16
; WaveLimiterHint : 0
; COMPUTE_PGM_RSRC2:SCRATCH_EN: 0
; COMPUTE_PGM_RSRC2:USER_SGPR: 2
; COMPUTE_PGM_RSRC2:TRAP_HANDLER: 0
; COMPUTE_PGM_RSRC2:TGID_X_EN: 1
; COMPUTE_PGM_RSRC2:TGID_Y_EN: 0
; COMPUTE_PGM_RSRC2:TGID_Z_EN: 0
; COMPUTE_PGM_RSRC2:TIDIG_COMP_CNT: 0
	.section	.text._ZN9rocsolver6v33100L11gemm_kernelI19rocblas_complex_numIfEiPKS3_PS3_S6_S6_EEvT0_S7_S7_T1_bT2_lS7_S7_lbT3_lS7_S7_lS8_T4_lS7_S7_l,"axG",@progbits,_ZN9rocsolver6v33100L11gemm_kernelI19rocblas_complex_numIfEiPKS3_PS3_S6_S6_EEvT0_S7_S7_T1_bT2_lS7_S7_lbT3_lS7_S7_lS8_T4_lS7_S7_l,comdat
	.globl	_ZN9rocsolver6v33100L11gemm_kernelI19rocblas_complex_numIfEiPKS3_PS3_S6_S6_EEvT0_S7_S7_T1_bT2_lS7_S7_lbT3_lS7_S7_lS8_T4_lS7_S7_l ; -- Begin function _ZN9rocsolver6v33100L11gemm_kernelI19rocblas_complex_numIfEiPKS3_PS3_S6_S6_EEvT0_S7_S7_T1_bT2_lS7_S7_lbT3_lS7_S7_lS8_T4_lS7_S7_l
	.p2align	8
	.type	_ZN9rocsolver6v33100L11gemm_kernelI19rocblas_complex_numIfEiPKS3_PS3_S6_S6_EEvT0_S7_S7_T1_bT2_lS7_S7_lbT3_lS7_S7_lS8_T4_lS7_S7_l,@function
_ZN9rocsolver6v33100L11gemm_kernelI19rocblas_complex_numIfEiPKS3_PS3_S6_S6_EEvT0_S7_S7_T1_bT2_lS7_S7_lbT3_lS7_S7_lS8_T4_lS7_S7_l: ; @_ZN9rocsolver6v33100L11gemm_kernelI19rocblas_complex_numIfEiPKS3_PS3_S6_S6_EEvT0_S7_S7_T1_bT2_lS7_S7_lbT3_lS7_S7_lS8_T4_lS7_S7_l
; %bb.0:
	s_clause 0x1
	s_load_b32 s2, s[0:1], 0x9c
	s_load_b96 s[20:22], s[0:1], 0x0
	s_bfe_u32 s4, ttmp6, 0x4000c
	s_bfe_u32 s6, ttmp6, 0x40010
	s_and_b32 s5, ttmp7, 0xffff
	s_add_co_i32 s4, s4, 1
	s_add_co_i32 s6, s6, 1
	s_and_b32 s3, ttmp6, 15
	s_bfe_u32 s7, ttmp6, 0x40004
	s_mul_i32 s4, ttmp9, s4
	s_mul_i32 s6, s5, s6
	s_getreg_b32 s12, hwreg(HW_REG_IB_STS2, 6, 4)
	v_bfe_u32 v2, v0, 10, 10
	v_and_b32_e32 v0, 0x3ff, v0
	s_add_co_i32 s3, s3, s4
	s_add_co_i32 s7, s7, s6
	s_wait_kmcnt 0x0
	s_and_b32 s4, s2, 0xffff
	s_lshr_b32 s2, s2, 16
	s_cmp_eq_u32 s12, 0
	s_cselect_b32 s3, ttmp9, s3
	s_cselect_b32 s5, s5, s7
	v_mad_u32 v1, s3, s4, v0
	v_mad_u32 v3, s5, s2, v2
	s_mov_b32 s3, 0
	s_delay_alu instid0(VALU_DEP_2) | instskip(NEXT) | instid1(VALU_DEP_2)
	v_cmp_gt_i32_e32 vcc_lo, s20, v1
	v_cmp_gt_i32_e64 s2, s21, v3
	s_and_b32 s2, vcc_lo, s2
	s_delay_alu instid0(SALU_CYCLE_1)
	s_and_saveexec_b32 s4, s2
	s_cbranch_execz .LBB2_10
; %bb.1:
	s_clause 0x1
	s_load_b64 s[14:15], s[0:1], 0x10
	s_load_b256 s[4:11], s[0:1], 0x60
	s_bfe_u32 s2, ttmp6, 0x40014
	s_wait_kmcnt 0x0
	s_load_b64 s[24:25], s[14:15], 0x0
	s_load_b64 s[20:21], s[6:7], 0x0
	s_wait_xcnt 0x0
	s_lshr_b32 s6, ttmp7, 16
	s_add_co_i32 s2, s2, 1
	s_bfe_u32 s7, ttmp6, 0x40008
	s_mul_i32 s2, s6, s2
	s_delay_alu instid0(SALU_CYCLE_1)
	s_add_co_i32 s7, s7, s2
	s_cmp_eq_u32 s12, 0
	s_cselect_b32 s2, s6, s7
	s_cmp_lt_i32 s22, 1
	s_cbranch_scc1 .LBB2_8
; %bb.2:
	s_clause 0x4
	s_load_b32 s23, s[0:1], 0x18
	s_load_b256 s[12:19], s[0:1], 0x20
	s_load_b32 s26, s[0:1], 0x40
	s_load_b64 s[6:7], s[0:1], 0x58
	s_load_b128 s[28:31], s[0:1], 0x48
	s_mul_u64 s[4:5], s[4:5], s[2:3]
	v_dual_mov_b32 v0, 0 :: v_dual_mov_b32 v2, 0
	s_wait_kmcnt 0x0
	s_bitcmp1_b32 s23, 0
	v_mul_lo_u32 v4, v1, s16
	s_cselect_b32 s23, -1, 0
	v_mul_lo_u32 v10, v3, s7
	s_xor_b32 s16, s23, -1
	s_mul_u64 s[18:19], s[18:19], s[2:3]
	s_bitcmp1_b32 s26, 0
	s_cselect_b32 s7, -1, 0
	s_lshl_b64 s[18:19], s[18:19], 3
	s_lshl_b64 s[4:5], s[4:5], 3
	;; [unrolled: 1-line block ×4, first 2 shown]
	s_add_nc_u64 s[12:13], s[12:13], s[18:19]
	s_add_nc_u64 s[18:19], s[28:29], s[4:5]
	s_add_nc_u64 s[4:5], s[12:13], s[14:15]
	s_add_nc_u64 s[12:13], s[18:19], s[26:27]
	s_branch .LBB2_4
.LBB2_3:                                ;   in Loop: Header=BB2_4 Depth=1
	global_load_b64 v[8:9], v10, s[12:13] scale_offset
	s_add_co_i32 s22, s22, -1
	v_add_nc_u32_e32 v4, s17, v4
	s_cmp_eq_u32 s22, 0
	s_wait_loadcnt 0x0
	v_dual_cndmask_b32 v5, v9, -v9, s7 :: v_dual_mul_f32 v9, v7, v8
	s_delay_alu instid0(VALU_DEP_1) | instskip(SKIP_1) | instid1(VALU_DEP_2)
	v_dual_mul_f32 v7, v7, v5 :: v_dual_fmac_f32 v9, v5, v6
	v_add_nc_u32_e32 v10, s6, v10
	v_fma_f32 v5, v8, v6, -v7
	s_delay_alu instid0(VALU_DEP_3) | instskip(NEXT) | instid1(VALU_DEP_2)
	v_add_f32_e32 v0, v0, v9
	v_add_f32_e32 v2, v2, v5
	s_cbranch_scc1 .LBB2_9
.LBB2_4:                                ; =>This Inner Loop Header: Depth=1
	v_ashrrev_i32_e32 v5, 31, v4
	s_and_b32 vcc_lo, exec_lo, s16
	s_mov_b32 s14, -1
                                        ; implicit-def: $vgpr7
	s_delay_alu instid0(VALU_DEP_1)
	v_lshl_add_u64 v[8:9], v[4:5], 3, s[4:5]
	s_cbranch_vccz .LBB2_6
; %bb.5:                                ;   in Loop: Header=BB2_4 Depth=1
	global_load_b64 v[6:7], v[8:9], off
	s_mov_b32 s14, 0
.LBB2_6:                                ;   in Loop: Header=BB2_4 Depth=1
	s_delay_alu instid0(SALU_CYCLE_1)
	s_and_not1_b32 vcc_lo, exec_lo, s14
	s_cbranch_vccnz .LBB2_3
; %bb.7:                                ;   in Loop: Header=BB2_4 Depth=1
	s_wait_loadcnt 0x0
	global_load_b64 v[6:7], v[8:9], off
	s_wait_loadcnt 0x0
	v_xor_b32_e32 v7, 0x80000000, v7
	s_branch .LBB2_3
.LBB2_8:
	v_dual_mov_b32 v0, 0 :: v_dual_mov_b32 v2, 0
.LBB2_9:
	s_load_b128 s[4:7], s[0:1], 0x80
	s_wait_kmcnt 0x0
	v_mov_b64_e32 v[6:7], s[24:25]
	v_mov_b64_e32 v[8:9], s[20:21]
	v_mul_lo_u32 v1, v1, s4
	s_mul_u64 s[0:1], s[6:7], s[2:3]
	s_lshl_b64 s[2:3], s[10:11], 3
	s_lshl_b64 s[0:1], s[0:1], 3
	s_delay_alu instid0(SALU_CYCLE_1) | instskip(NEXT) | instid1(SALU_CYCLE_1)
	s_add_nc_u64 s[0:1], s[8:9], s[0:1]
	s_add_nc_u64 s[0:1], s[0:1], s[2:3]
	s_delay_alu instid0(VALU_DEP_1) | instskip(SKIP_1) | instid1(VALU_DEP_1)
	v_mad_u32 v16, v3, s5, v1
	v_pk_mul_f32 v[0:1], v[6:7], v[0:1] op_sel:[1,0] op_sel_hi:[0,0]
	v_pk_fma_f32 v[12:13], v[6:7], v[2:3], v[0:1] op_sel_hi:[1,0,1]
	v_pk_fma_f32 v[0:1], v[6:7], v[2:3], v[0:1] neg_lo:[0,0,1] neg_hi:[0,0,1]
	global_load_b64 v[4:5], v16, s[0:1] scale_offset
	s_wait_loadcnt 0x0
	v_pk_mul_f32 v[10:11], v[8:9], v[4:5] op_sel:[1,1] op_sel_hi:[0,1]
	s_delay_alu instid0(VALU_DEP_1) | instskip(SKIP_1) | instid1(VALU_DEP_2)
	v_pk_fma_f32 v[14:15], v[8:9], v[4:5], v[10:11] op_sel_hi:[1,0,1]
	v_pk_fma_f32 v[2:3], v[8:9], v[4:5], v[10:11] neg_lo:[0,0,1] neg_hi:[0,0,1]
	v_dual_mov_b32 v1, v13 :: v_dual_mov_b32 v3, v15
	s_delay_alu instid0(VALU_DEP_1)
	v_pk_add_f32 v[0:1], v[0:1], v[2:3]
	global_store_b64 v16, v[0:1], s[0:1] scale_offset
.LBB2_10:
	s_endpgm
	.section	.rodata,"a",@progbits
	.p2align	6, 0x0
	.amdhsa_kernel _ZN9rocsolver6v33100L11gemm_kernelI19rocblas_complex_numIfEiPKS3_PS3_S6_S6_EEvT0_S7_S7_T1_bT2_lS7_S7_lbT3_lS7_S7_lS8_T4_lS7_S7_l
		.amdhsa_group_segment_fixed_size 0
		.amdhsa_private_segment_fixed_size 0
		.amdhsa_kernarg_size 400
		.amdhsa_user_sgpr_count 2
		.amdhsa_user_sgpr_dispatch_ptr 0
		.amdhsa_user_sgpr_queue_ptr 0
		.amdhsa_user_sgpr_kernarg_segment_ptr 1
		.amdhsa_user_sgpr_dispatch_id 0
		.amdhsa_user_sgpr_kernarg_preload_length 0
		.amdhsa_user_sgpr_kernarg_preload_offset 0
		.amdhsa_user_sgpr_private_segment_size 0
		.amdhsa_wavefront_size32 1
		.amdhsa_uses_dynamic_stack 0
		.amdhsa_enable_private_segment 0
		.amdhsa_system_sgpr_workgroup_id_x 1
		.amdhsa_system_sgpr_workgroup_id_y 1
		.amdhsa_system_sgpr_workgroup_id_z 1
		.amdhsa_system_sgpr_workgroup_info 0
		.amdhsa_system_vgpr_workitem_id 1
		.amdhsa_next_free_vgpr 17
		.amdhsa_next_free_sgpr 32
		.amdhsa_named_barrier_count 0
		.amdhsa_reserve_vcc 1
		.amdhsa_float_round_mode_32 0
		.amdhsa_float_round_mode_16_64 0
		.amdhsa_float_denorm_mode_32 3
		.amdhsa_float_denorm_mode_16_64 3
		.amdhsa_fp16_overflow 0
		.amdhsa_memory_ordered 1
		.amdhsa_forward_progress 1
		.amdhsa_inst_pref_size 7
		.amdhsa_round_robin_scheduling 0
		.amdhsa_exception_fp_ieee_invalid_op 0
		.amdhsa_exception_fp_denorm_src 0
		.amdhsa_exception_fp_ieee_div_zero 0
		.amdhsa_exception_fp_ieee_overflow 0
		.amdhsa_exception_fp_ieee_underflow 0
		.amdhsa_exception_fp_ieee_inexact 0
		.amdhsa_exception_int_div_zero 0
	.end_amdhsa_kernel
	.section	.text._ZN9rocsolver6v33100L11gemm_kernelI19rocblas_complex_numIfEiPKS3_PS3_S6_S6_EEvT0_S7_S7_T1_bT2_lS7_S7_lbT3_lS7_S7_lS8_T4_lS7_S7_l,"axG",@progbits,_ZN9rocsolver6v33100L11gemm_kernelI19rocblas_complex_numIfEiPKS3_PS3_S6_S6_EEvT0_S7_S7_T1_bT2_lS7_S7_lbT3_lS7_S7_lS8_T4_lS7_S7_l,comdat
.Lfunc_end2:
	.size	_ZN9rocsolver6v33100L11gemm_kernelI19rocblas_complex_numIfEiPKS3_PS3_S6_S6_EEvT0_S7_S7_T1_bT2_lS7_S7_lbT3_lS7_S7_lS8_T4_lS7_S7_l, .Lfunc_end2-_ZN9rocsolver6v33100L11gemm_kernelI19rocblas_complex_numIfEiPKS3_PS3_S6_S6_EEvT0_S7_S7_T1_bT2_lS7_S7_lbT3_lS7_S7_lS8_T4_lS7_S7_l
                                        ; -- End function
	.set _ZN9rocsolver6v33100L11gemm_kernelI19rocblas_complex_numIfEiPKS3_PS3_S6_S6_EEvT0_S7_S7_T1_bT2_lS7_S7_lbT3_lS7_S7_lS8_T4_lS7_S7_l.num_vgpr, 17
	.set _ZN9rocsolver6v33100L11gemm_kernelI19rocblas_complex_numIfEiPKS3_PS3_S6_S6_EEvT0_S7_S7_T1_bT2_lS7_S7_lbT3_lS7_S7_lS8_T4_lS7_S7_l.num_agpr, 0
	.set _ZN9rocsolver6v33100L11gemm_kernelI19rocblas_complex_numIfEiPKS3_PS3_S6_S6_EEvT0_S7_S7_T1_bT2_lS7_S7_lbT3_lS7_S7_lS8_T4_lS7_S7_l.numbered_sgpr, 32
	.set _ZN9rocsolver6v33100L11gemm_kernelI19rocblas_complex_numIfEiPKS3_PS3_S6_S6_EEvT0_S7_S7_T1_bT2_lS7_S7_lbT3_lS7_S7_lS8_T4_lS7_S7_l.num_named_barrier, 0
	.set _ZN9rocsolver6v33100L11gemm_kernelI19rocblas_complex_numIfEiPKS3_PS3_S6_S6_EEvT0_S7_S7_T1_bT2_lS7_S7_lbT3_lS7_S7_lS8_T4_lS7_S7_l.private_seg_size, 0
	.set _ZN9rocsolver6v33100L11gemm_kernelI19rocblas_complex_numIfEiPKS3_PS3_S6_S6_EEvT0_S7_S7_T1_bT2_lS7_S7_lbT3_lS7_S7_lS8_T4_lS7_S7_l.uses_vcc, 1
	.set _ZN9rocsolver6v33100L11gemm_kernelI19rocblas_complex_numIfEiPKS3_PS3_S6_S6_EEvT0_S7_S7_T1_bT2_lS7_S7_lbT3_lS7_S7_lS8_T4_lS7_S7_l.uses_flat_scratch, 0
	.set _ZN9rocsolver6v33100L11gemm_kernelI19rocblas_complex_numIfEiPKS3_PS3_S6_S6_EEvT0_S7_S7_T1_bT2_lS7_S7_lbT3_lS7_S7_lS8_T4_lS7_S7_l.has_dyn_sized_stack, 0
	.set _ZN9rocsolver6v33100L11gemm_kernelI19rocblas_complex_numIfEiPKS3_PS3_S6_S6_EEvT0_S7_S7_T1_bT2_lS7_S7_lbT3_lS7_S7_lS8_T4_lS7_S7_l.has_recursion, 0
	.set _ZN9rocsolver6v33100L11gemm_kernelI19rocblas_complex_numIfEiPKS3_PS3_S6_S6_EEvT0_S7_S7_T1_bT2_lS7_S7_lbT3_lS7_S7_lS8_T4_lS7_S7_l.has_indirect_call, 0
	.section	.AMDGPU.csdata,"",@progbits
; Kernel info:
; codeLenInByte = 772
; TotalNumSgprs: 34
; NumVgprs: 17
; ScratchSize: 0
; MemoryBound: 0
; FloatMode: 240
; IeeeMode: 1
; LDSByteSize: 0 bytes/workgroup (compile time only)
; SGPRBlocks: 0
; VGPRBlocks: 1
; NumSGPRsForWavesPerEU: 34
; NumVGPRsForWavesPerEU: 17
; NamedBarCnt: 0
; Occupancy: 16
; WaveLimiterHint : 1
; COMPUTE_PGM_RSRC2:SCRATCH_EN: 0
; COMPUTE_PGM_RSRC2:USER_SGPR: 2
; COMPUTE_PGM_RSRC2:TRAP_HANDLER: 0
; COMPUTE_PGM_RSRC2:TGID_X_EN: 1
; COMPUTE_PGM_RSRC2:TGID_Y_EN: 1
; COMPUTE_PGM_RSRC2:TGID_Z_EN: 1
; COMPUTE_PGM_RSRC2:TIDIG_COMP_CNT: 1
	.section	.text._ZN9rocsolver6v33100L11gemm_kernelI19rocblas_complex_numIfEiS3_PS3_S4_S4_EEvT0_S5_S5_T1_bT2_lS5_S5_lbT3_lS5_S5_lS6_T4_lS5_S5_l,"axG",@progbits,_ZN9rocsolver6v33100L11gemm_kernelI19rocblas_complex_numIfEiS3_PS3_S4_S4_EEvT0_S5_S5_T1_bT2_lS5_S5_lbT3_lS5_S5_lS6_T4_lS5_S5_l,comdat
	.globl	_ZN9rocsolver6v33100L11gemm_kernelI19rocblas_complex_numIfEiS3_PS3_S4_S4_EEvT0_S5_S5_T1_bT2_lS5_S5_lbT3_lS5_S5_lS6_T4_lS5_S5_l ; -- Begin function _ZN9rocsolver6v33100L11gemm_kernelI19rocblas_complex_numIfEiS3_PS3_S4_S4_EEvT0_S5_S5_T1_bT2_lS5_S5_lbT3_lS5_S5_lS6_T4_lS5_S5_l
	.p2align	8
	.type	_ZN9rocsolver6v33100L11gemm_kernelI19rocblas_complex_numIfEiS3_PS3_S4_S4_EEvT0_S5_S5_T1_bT2_lS5_S5_lbT3_lS5_S5_lS6_T4_lS5_S5_l,@function
_ZN9rocsolver6v33100L11gemm_kernelI19rocblas_complex_numIfEiS3_PS3_S4_S4_EEvT0_S5_S5_T1_bT2_lS5_S5_lbT3_lS5_S5_lS6_T4_lS5_S5_l: ; @_ZN9rocsolver6v33100L11gemm_kernelI19rocblas_complex_numIfEiS3_PS3_S4_S4_EEvT0_S5_S5_T1_bT2_lS5_S5_lbT3_lS5_S5_lS6_T4_lS5_S5_l
; %bb.0:
	s_clause 0x1
	s_load_b32 s2, s[0:1], 0x94
	s_load_b128 s[20:23], s[0:1], 0x0
	s_bfe_u32 s5, ttmp6, 0x4000c
	s_bfe_u32 s7, ttmp6, 0x40010
	s_and_b32 s6, ttmp7, 0xffff
	s_add_co_i32 s5, s5, 1
	s_add_co_i32 s7, s7, 1
	s_and_b32 s3, ttmp6, 15
	s_bfe_u32 s8, ttmp6, 0x40004
	s_mul_i32 s5, ttmp9, s5
	s_mul_i32 s7, s6, s7
	s_getreg_b32 s4, hwreg(HW_REG_IB_STS2, 6, 4)
	v_bfe_u32 v2, v0, 10, 10
	v_and_b32_e32 v0, 0x3ff, v0
	s_add_co_i32 s3, s3, s5
	s_add_co_i32 s8, s8, s7
	s_mov_b32 s25, 0
	s_wait_kmcnt 0x0
	s_and_b32 s5, s2, 0xffff
	s_lshr_b32 s2, s2, 16
	s_cmp_eq_u32 s4, 0
	s_cselect_b32 s3, ttmp9, s3
	s_cselect_b32 s6, s6, s8
	v_mad_u32 v1, s3, s5, v0
	v_mad_u32 v3, s6, s2, v2
	s_delay_alu instid0(VALU_DEP_2) | instskip(NEXT) | instid1(VALU_DEP_2)
	v_cmp_gt_i32_e32 vcc_lo, s20, v1
	v_cmp_gt_i32_e64 s2, s21, v3
	s_and_b32 s2, vcc_lo, s2
	s_delay_alu instid0(SALU_CYCLE_1)
	s_and_saveexec_b32 s3, s2
	s_cbranch_execz .LBB3_10
; %bb.1:
	s_clause 0x1
	s_load_b64 s[2:3], s[0:1], 0x10
	s_load_b64 s[20:21], s[0:1], 0x60
	s_bfe_u32 s5, ttmp6, 0x40014
	s_lshr_b32 s6, ttmp7, 16
	s_add_co_i32 s5, s5, 1
	s_bfe_u32 s7, ttmp6, 0x40008
	s_mul_i32 s5, s6, s5
	s_delay_alu instid0(SALU_CYCLE_1)
	s_add_co_i32 s7, s7, s5
	s_cmp_eq_u32 s4, 0
	s_cselect_b32 s24, s6, s7
	s_cmp_lt_i32 s22, 1
	s_cbranch_scc1 .LBB3_8
; %bb.2:
	s_clause 0x2
	s_load_b32 s26, s[0:1], 0x38
	s_load_b256 s[4:11], s[0:1], 0x18
	s_load_b256 s[12:19], s[0:1], 0x40
	s_wait_kmcnt 0x0
	s_bitcmp1_b32 s3, 0
	v_dual_mov_b32 v0, 0 :: v_dual_mov_b32 v2, 0
	s_cselect_b32 s3, -1, 0
	s_delay_alu instid0(SALU_CYCLE_1)
	s_xor_b32 s3, s3, -1
	s_bitcmp1_b32 s26, 0
	v_mul_lo_u32 v4, v1, s8
	v_mul_lo_u32 v10, v3, s17
	s_mul_u64 s[10:11], s[10:11], s[24:25]
	s_mul_u64 s[18:19], s[18:19], s[24:25]
	s_cselect_b32 s8, -1, 0
	s_lshl_b64 s[10:11], s[10:11], 3
	s_lshl_b64 s[18:19], s[18:19], 3
	s_lshl_b64 s[6:7], s[6:7], 3
	s_add_nc_u64 s[4:5], s[4:5], s[10:11]
	s_add_nc_u64 s[10:11], s[12:13], s[18:19]
	s_lshl_b64 s[12:13], s[14:15], 3
	s_add_nc_u64 s[4:5], s[4:5], s[6:7]
	s_add_nc_u64 s[6:7], s[10:11], s[12:13]
	s_branch .LBB3_4
.LBB3_3:                                ;   in Loop: Header=BB3_4 Depth=1
	global_load_b64 v[8:9], v10, s[6:7] scale_offset
	s_add_co_i32 s22, s22, -1
	v_add_nc_u32_e32 v4, s9, v4
	s_cmp_eq_u32 s22, 0
	s_wait_loadcnt 0x0
	v_dual_cndmask_b32 v5, v9, -v9, s8 :: v_dual_mul_f32 v9, v7, v8
	s_delay_alu instid0(VALU_DEP_1) | instskip(SKIP_1) | instid1(VALU_DEP_2)
	v_dual_mul_f32 v7, v7, v5 :: v_dual_fmac_f32 v9, v5, v6
	v_add_nc_u32_e32 v10, s16, v10
	v_fma_f32 v5, v8, v6, -v7
	s_delay_alu instid0(VALU_DEP_3) | instskip(NEXT) | instid1(VALU_DEP_2)
	v_add_f32_e32 v0, v0, v9
	v_add_f32_e32 v2, v2, v5
	s_cbranch_scc1 .LBB3_9
.LBB3_4:                                ; =>This Inner Loop Header: Depth=1
	v_ashrrev_i32_e32 v5, 31, v4
	s_and_b32 vcc_lo, exec_lo, s3
	s_mov_b32 s10, -1
                                        ; implicit-def: $vgpr7
	s_delay_alu instid0(VALU_DEP_1)
	v_lshl_add_u64 v[8:9], v[4:5], 3, s[4:5]
	s_cbranch_vccz .LBB3_6
; %bb.5:                                ;   in Loop: Header=BB3_4 Depth=1
	global_load_b64 v[6:7], v[8:9], off
	s_mov_b32 s10, 0
.LBB3_6:                                ;   in Loop: Header=BB3_4 Depth=1
	s_delay_alu instid0(SALU_CYCLE_1)
	s_and_not1_b32 vcc_lo, exec_lo, s10
	s_cbranch_vccnz .LBB3_3
; %bb.7:                                ;   in Loop: Header=BB3_4 Depth=1
	s_wait_loadcnt 0x0
	global_load_b64 v[6:7], v[8:9], off
	s_wait_loadcnt 0x0
	v_xor_b32_e32 v7, 0x80000000, v7
	s_branch .LBB3_3
.LBB3_8:
	v_dual_mov_b32 v0, 0 :: v_dual_mov_b32 v2, 0
.LBB3_9:
	s_load_b256 s[4:11], s[0:1], 0x68
	s_wait_kmcnt 0x0
	v_dual_mov_b32 v6, s2 :: v_dual_mov_b32 v7, s23
	v_mov_b64_e32 v[8:9], s[20:21]
	v_mul_lo_u32 v1, v1, s8
	s_mul_u64 s[0:1], s[10:11], s[24:25]
	s_delay_alu instid0(SALU_CYCLE_1) | instskip(NEXT) | instid1(SALU_CYCLE_1)
	s_lshl_b64 s[0:1], s[0:1], 3
	s_add_nc_u64 s[0:1], s[4:5], s[0:1]
	s_lshl_b64 s[4:5], s[6:7], 3
	s_delay_alu instid0(SALU_CYCLE_1) | instskip(SKIP_2) | instid1(VALU_DEP_1)
	s_add_nc_u64 s[0:1], s[0:1], s[4:5]
	s_mov_b32 s4, s23
	s_mov_b32 s5, s2
	v_mad_u32 v16, v3, s9, v1
	v_pk_mul_f32 v[0:1], v[6:7], v[0:1] op_sel_hi:[1,0]
	v_mov_b64_e32 v[6:7], s[4:5]
	s_delay_alu instid0(VALU_DEP_1) | instskip(SKIP_4) | instid1(VALU_DEP_1)
	v_pk_fma_f32 v[12:13], v[6:7], v[2:3], v[0:1] op_sel_hi:[1,0,1]
	v_pk_fma_f32 v[0:1], v[6:7], v[2:3], v[0:1] neg_lo:[0,0,1] neg_hi:[0,0,1]
	global_load_b64 v[4:5], v16, s[0:1] scale_offset
	s_wait_loadcnt 0x0
	v_pk_mul_f32 v[10:11], v[8:9], v[4:5] op_sel:[1,1] op_sel_hi:[0,1]
	v_pk_fma_f32 v[14:15], v[8:9], v[4:5], v[10:11] op_sel_hi:[1,0,1]
	v_pk_fma_f32 v[2:3], v[8:9], v[4:5], v[10:11] neg_lo:[0,0,1] neg_hi:[0,0,1]
	s_delay_alu instid0(VALU_DEP_2) | instskip(NEXT) | instid1(VALU_DEP_1)
	v_dual_mov_b32 v1, v13 :: v_dual_mov_b32 v3, v15
	v_pk_add_f32 v[0:1], v[0:1], v[2:3]
	global_store_b64 v16, v[0:1], s[0:1] scale_offset
.LBB3_10:
	s_endpgm
	.section	.rodata,"a",@progbits
	.p2align	6, 0x0
	.amdhsa_kernel _ZN9rocsolver6v33100L11gemm_kernelI19rocblas_complex_numIfEiS3_PS3_S4_S4_EEvT0_S5_S5_T1_bT2_lS5_S5_lbT3_lS5_S5_lS6_T4_lS5_S5_l
		.amdhsa_group_segment_fixed_size 0
		.amdhsa_private_segment_fixed_size 0
		.amdhsa_kernarg_size 392
		.amdhsa_user_sgpr_count 2
		.amdhsa_user_sgpr_dispatch_ptr 0
		.amdhsa_user_sgpr_queue_ptr 0
		.amdhsa_user_sgpr_kernarg_segment_ptr 1
		.amdhsa_user_sgpr_dispatch_id 0
		.amdhsa_user_sgpr_kernarg_preload_length 0
		.amdhsa_user_sgpr_kernarg_preload_offset 0
		.amdhsa_user_sgpr_private_segment_size 0
		.amdhsa_wavefront_size32 1
		.amdhsa_uses_dynamic_stack 0
		.amdhsa_enable_private_segment 0
		.amdhsa_system_sgpr_workgroup_id_x 1
		.amdhsa_system_sgpr_workgroup_id_y 1
		.amdhsa_system_sgpr_workgroup_id_z 1
		.amdhsa_system_sgpr_workgroup_info 0
		.amdhsa_system_vgpr_workitem_id 1
		.amdhsa_next_free_vgpr 17
		.amdhsa_next_free_sgpr 27
		.amdhsa_named_barrier_count 0
		.amdhsa_reserve_vcc 1
		.amdhsa_float_round_mode_32 0
		.amdhsa_float_round_mode_16_64 0
		.amdhsa_float_denorm_mode_32 3
		.amdhsa_float_denorm_mode_16_64 3
		.amdhsa_fp16_overflow 0
		.amdhsa_memory_ordered 1
		.amdhsa_forward_progress 1
		.amdhsa_inst_pref_size 6
		.amdhsa_round_robin_scheduling 0
		.amdhsa_exception_fp_ieee_invalid_op 0
		.amdhsa_exception_fp_denorm_src 0
		.amdhsa_exception_fp_ieee_div_zero 0
		.amdhsa_exception_fp_ieee_overflow 0
		.amdhsa_exception_fp_ieee_underflow 0
		.amdhsa_exception_fp_ieee_inexact 0
		.amdhsa_exception_int_div_zero 0
	.end_amdhsa_kernel
	.section	.text._ZN9rocsolver6v33100L11gemm_kernelI19rocblas_complex_numIfEiS3_PS3_S4_S4_EEvT0_S5_S5_T1_bT2_lS5_S5_lbT3_lS5_S5_lS6_T4_lS5_S5_l,"axG",@progbits,_ZN9rocsolver6v33100L11gemm_kernelI19rocblas_complex_numIfEiS3_PS3_S4_S4_EEvT0_S5_S5_T1_bT2_lS5_S5_lbT3_lS5_S5_lS6_T4_lS5_S5_l,comdat
.Lfunc_end3:
	.size	_ZN9rocsolver6v33100L11gemm_kernelI19rocblas_complex_numIfEiS3_PS3_S4_S4_EEvT0_S5_S5_T1_bT2_lS5_S5_lbT3_lS5_S5_lS6_T4_lS5_S5_l, .Lfunc_end3-_ZN9rocsolver6v33100L11gemm_kernelI19rocblas_complex_numIfEiS3_PS3_S4_S4_EEvT0_S5_S5_T1_bT2_lS5_S5_lbT3_lS5_S5_lS6_T4_lS5_S5_l
                                        ; -- End function
	.set _ZN9rocsolver6v33100L11gemm_kernelI19rocblas_complex_numIfEiS3_PS3_S4_S4_EEvT0_S5_S5_T1_bT2_lS5_S5_lbT3_lS5_S5_lS6_T4_lS5_S5_l.num_vgpr, 17
	.set _ZN9rocsolver6v33100L11gemm_kernelI19rocblas_complex_numIfEiS3_PS3_S4_S4_EEvT0_S5_S5_T1_bT2_lS5_S5_lbT3_lS5_S5_lS6_T4_lS5_S5_l.num_agpr, 0
	.set _ZN9rocsolver6v33100L11gemm_kernelI19rocblas_complex_numIfEiS3_PS3_S4_S4_EEvT0_S5_S5_T1_bT2_lS5_S5_lbT3_lS5_S5_lS6_T4_lS5_S5_l.numbered_sgpr, 27
	.set _ZN9rocsolver6v33100L11gemm_kernelI19rocblas_complex_numIfEiS3_PS3_S4_S4_EEvT0_S5_S5_T1_bT2_lS5_S5_lbT3_lS5_S5_lS6_T4_lS5_S5_l.num_named_barrier, 0
	.set _ZN9rocsolver6v33100L11gemm_kernelI19rocblas_complex_numIfEiS3_PS3_S4_S4_EEvT0_S5_S5_T1_bT2_lS5_S5_lbT3_lS5_S5_lS6_T4_lS5_S5_l.private_seg_size, 0
	.set _ZN9rocsolver6v33100L11gemm_kernelI19rocblas_complex_numIfEiS3_PS3_S4_S4_EEvT0_S5_S5_T1_bT2_lS5_S5_lbT3_lS5_S5_lS6_T4_lS5_S5_l.uses_vcc, 1
	.set _ZN9rocsolver6v33100L11gemm_kernelI19rocblas_complex_numIfEiS3_PS3_S4_S4_EEvT0_S5_S5_T1_bT2_lS5_S5_lbT3_lS5_S5_lS6_T4_lS5_S5_l.uses_flat_scratch, 0
	.set _ZN9rocsolver6v33100L11gemm_kernelI19rocblas_complex_numIfEiS3_PS3_S4_S4_EEvT0_S5_S5_T1_bT2_lS5_S5_lbT3_lS5_S5_lS6_T4_lS5_S5_l.has_dyn_sized_stack, 0
	.set _ZN9rocsolver6v33100L11gemm_kernelI19rocblas_complex_numIfEiS3_PS3_S4_S4_EEvT0_S5_S5_T1_bT2_lS5_S5_lbT3_lS5_S5_lS6_T4_lS5_S5_l.has_recursion, 0
	.set _ZN9rocsolver6v33100L11gemm_kernelI19rocblas_complex_numIfEiS3_PS3_S4_S4_EEvT0_S5_S5_T1_bT2_lS5_S5_lbT3_lS5_S5_lS6_T4_lS5_S5_l.has_indirect_call, 0
	.section	.AMDGPU.csdata,"",@progbits
; Kernel info:
; codeLenInByte = 752
; TotalNumSgprs: 29
; NumVgprs: 17
; ScratchSize: 0
; MemoryBound: 0
; FloatMode: 240
; IeeeMode: 1
; LDSByteSize: 0 bytes/workgroup (compile time only)
; SGPRBlocks: 0
; VGPRBlocks: 1
; NumSGPRsForWavesPerEU: 29
; NumVGPRsForWavesPerEU: 17
; NamedBarCnt: 0
; Occupancy: 16
; WaveLimiterHint : 0
; COMPUTE_PGM_RSRC2:SCRATCH_EN: 0
; COMPUTE_PGM_RSRC2:USER_SGPR: 2
; COMPUTE_PGM_RSRC2:TRAP_HANDLER: 0
; COMPUTE_PGM_RSRC2:TGID_X_EN: 1
; COMPUTE_PGM_RSRC2:TGID_Y_EN: 1
; COMPUTE_PGM_RSRC2:TGID_Z_EN: 1
; COMPUTE_PGM_RSRC2:TIDIG_COMP_CNT: 1
	.section	.text._ZN9rocsolver6v33100L16mfma_gemm_kernelI19rocblas_complex_numIfEiPKS3_PKPS3_S8_S8_EEv18rocblas_operation_S9_T0_SA_SA_T1_T2_lSA_SA_lT3_lSA_SA_lSB_T4_lSA_SA_l,"axG",@progbits,_ZN9rocsolver6v33100L16mfma_gemm_kernelI19rocblas_complex_numIfEiPKS3_PKPS3_S8_S8_EEv18rocblas_operation_S9_T0_SA_SA_T1_T2_lSA_SA_lT3_lSA_SA_lSB_T4_lSA_SA_l,comdat
	.globl	_ZN9rocsolver6v33100L16mfma_gemm_kernelI19rocblas_complex_numIfEiPKS3_PKPS3_S8_S8_EEv18rocblas_operation_S9_T0_SA_SA_T1_T2_lSA_SA_lT3_lSA_SA_lSB_T4_lSA_SA_l ; -- Begin function _ZN9rocsolver6v33100L16mfma_gemm_kernelI19rocblas_complex_numIfEiPKS3_PKPS3_S8_S8_EEv18rocblas_operation_S9_T0_SA_SA_T1_T2_lSA_SA_lT3_lSA_SA_lSB_T4_lSA_SA_l
	.p2align	8
	.type	_ZN9rocsolver6v33100L16mfma_gemm_kernelI19rocblas_complex_numIfEiPKS3_PKPS3_S8_S8_EEv18rocblas_operation_S9_T0_SA_SA_T1_T2_lSA_SA_lT3_lSA_SA_lSB_T4_lSA_SA_l,@function
_ZN9rocsolver6v33100L16mfma_gemm_kernelI19rocblas_complex_numIfEiPKS3_PKPS3_S8_S8_EEv18rocblas_operation_S9_T0_SA_SA_T1_T2_lSA_SA_lT3_lSA_SA_lSB_T4_lSA_SA_l: ; @_ZN9rocsolver6v33100L16mfma_gemm_kernelI19rocblas_complex_numIfEiPKS3_PKPS3_S8_S8_EEv18rocblas_operation_S9_T0_SA_SA_T1_T2_lSA_SA_lT3_lSA_SA_lSB_T4_lSA_SA_l
; %bb.0:
	s_endpgm
	.section	.rodata,"a",@progbits
	.p2align	6, 0x0
	.amdhsa_kernel _ZN9rocsolver6v33100L16mfma_gemm_kernelI19rocblas_complex_numIfEiPKS3_PKPS3_S8_S8_EEv18rocblas_operation_S9_T0_SA_SA_T1_T2_lSA_SA_lT3_lSA_SA_lSB_T4_lSA_SA_l
		.amdhsa_group_segment_fixed_size 0
		.amdhsa_private_segment_fixed_size 0
		.amdhsa_kernarg_size 136
		.amdhsa_user_sgpr_count 2
		.amdhsa_user_sgpr_dispatch_ptr 0
		.amdhsa_user_sgpr_queue_ptr 0
		.amdhsa_user_sgpr_kernarg_segment_ptr 1
		.amdhsa_user_sgpr_dispatch_id 0
		.amdhsa_user_sgpr_kernarg_preload_length 0
		.amdhsa_user_sgpr_kernarg_preload_offset 0
		.amdhsa_user_sgpr_private_segment_size 0
		.amdhsa_wavefront_size32 1
		.amdhsa_uses_dynamic_stack 0
		.amdhsa_enable_private_segment 0
		.amdhsa_system_sgpr_workgroup_id_x 1
		.amdhsa_system_sgpr_workgroup_id_y 0
		.amdhsa_system_sgpr_workgroup_id_z 0
		.amdhsa_system_sgpr_workgroup_info 0
		.amdhsa_system_vgpr_workitem_id 0
		.amdhsa_next_free_vgpr 1
		.amdhsa_next_free_sgpr 1
		.amdhsa_named_barrier_count 0
		.amdhsa_reserve_vcc 0
		.amdhsa_float_round_mode_32 0
		.amdhsa_float_round_mode_16_64 0
		.amdhsa_float_denorm_mode_32 3
		.amdhsa_float_denorm_mode_16_64 3
		.amdhsa_fp16_overflow 0
		.amdhsa_memory_ordered 1
		.amdhsa_forward_progress 1
		.amdhsa_inst_pref_size 1
		.amdhsa_round_robin_scheduling 0
		.amdhsa_exception_fp_ieee_invalid_op 0
		.amdhsa_exception_fp_denorm_src 0
		.amdhsa_exception_fp_ieee_div_zero 0
		.amdhsa_exception_fp_ieee_overflow 0
		.amdhsa_exception_fp_ieee_underflow 0
		.amdhsa_exception_fp_ieee_inexact 0
		.amdhsa_exception_int_div_zero 0
	.end_amdhsa_kernel
	.section	.text._ZN9rocsolver6v33100L16mfma_gemm_kernelI19rocblas_complex_numIfEiPKS3_PKPS3_S8_S8_EEv18rocblas_operation_S9_T0_SA_SA_T1_T2_lSA_SA_lT3_lSA_SA_lSB_T4_lSA_SA_l,"axG",@progbits,_ZN9rocsolver6v33100L16mfma_gemm_kernelI19rocblas_complex_numIfEiPKS3_PKPS3_S8_S8_EEv18rocblas_operation_S9_T0_SA_SA_T1_T2_lSA_SA_lT3_lSA_SA_lSB_T4_lSA_SA_l,comdat
.Lfunc_end4:
	.size	_ZN9rocsolver6v33100L16mfma_gemm_kernelI19rocblas_complex_numIfEiPKS3_PKPS3_S8_S8_EEv18rocblas_operation_S9_T0_SA_SA_T1_T2_lSA_SA_lT3_lSA_SA_lSB_T4_lSA_SA_l, .Lfunc_end4-_ZN9rocsolver6v33100L16mfma_gemm_kernelI19rocblas_complex_numIfEiPKS3_PKPS3_S8_S8_EEv18rocblas_operation_S9_T0_SA_SA_T1_T2_lSA_SA_lT3_lSA_SA_lSB_T4_lSA_SA_l
                                        ; -- End function
	.set _ZN9rocsolver6v33100L16mfma_gemm_kernelI19rocblas_complex_numIfEiPKS3_PKPS3_S8_S8_EEv18rocblas_operation_S9_T0_SA_SA_T1_T2_lSA_SA_lT3_lSA_SA_lSB_T4_lSA_SA_l.num_vgpr, 0
	.set _ZN9rocsolver6v33100L16mfma_gemm_kernelI19rocblas_complex_numIfEiPKS3_PKPS3_S8_S8_EEv18rocblas_operation_S9_T0_SA_SA_T1_T2_lSA_SA_lT3_lSA_SA_lSB_T4_lSA_SA_l.num_agpr, 0
	.set _ZN9rocsolver6v33100L16mfma_gemm_kernelI19rocblas_complex_numIfEiPKS3_PKPS3_S8_S8_EEv18rocblas_operation_S9_T0_SA_SA_T1_T2_lSA_SA_lT3_lSA_SA_lSB_T4_lSA_SA_l.numbered_sgpr, 0
	.set _ZN9rocsolver6v33100L16mfma_gemm_kernelI19rocblas_complex_numIfEiPKS3_PKPS3_S8_S8_EEv18rocblas_operation_S9_T0_SA_SA_T1_T2_lSA_SA_lT3_lSA_SA_lSB_T4_lSA_SA_l.num_named_barrier, 0
	.set _ZN9rocsolver6v33100L16mfma_gemm_kernelI19rocblas_complex_numIfEiPKS3_PKPS3_S8_S8_EEv18rocblas_operation_S9_T0_SA_SA_T1_T2_lSA_SA_lT3_lSA_SA_lSB_T4_lSA_SA_l.private_seg_size, 0
	.set _ZN9rocsolver6v33100L16mfma_gemm_kernelI19rocblas_complex_numIfEiPKS3_PKPS3_S8_S8_EEv18rocblas_operation_S9_T0_SA_SA_T1_T2_lSA_SA_lT3_lSA_SA_lSB_T4_lSA_SA_l.uses_vcc, 0
	.set _ZN9rocsolver6v33100L16mfma_gemm_kernelI19rocblas_complex_numIfEiPKS3_PKPS3_S8_S8_EEv18rocblas_operation_S9_T0_SA_SA_T1_T2_lSA_SA_lT3_lSA_SA_lSB_T4_lSA_SA_l.uses_flat_scratch, 0
	.set _ZN9rocsolver6v33100L16mfma_gemm_kernelI19rocblas_complex_numIfEiPKS3_PKPS3_S8_S8_EEv18rocblas_operation_S9_T0_SA_SA_T1_T2_lSA_SA_lT3_lSA_SA_lSB_T4_lSA_SA_l.has_dyn_sized_stack, 0
	.set _ZN9rocsolver6v33100L16mfma_gemm_kernelI19rocblas_complex_numIfEiPKS3_PKPS3_S8_S8_EEv18rocblas_operation_S9_T0_SA_SA_T1_T2_lSA_SA_lT3_lSA_SA_lSB_T4_lSA_SA_l.has_recursion, 0
	.set _ZN9rocsolver6v33100L16mfma_gemm_kernelI19rocblas_complex_numIfEiPKS3_PKPS3_S8_S8_EEv18rocblas_operation_S9_T0_SA_SA_T1_T2_lSA_SA_lT3_lSA_SA_lSB_T4_lSA_SA_l.has_indirect_call, 0
	.section	.AMDGPU.csdata,"",@progbits
; Kernel info:
; codeLenInByte = 4
; TotalNumSgprs: 0
; NumVgprs: 0
; ScratchSize: 0
; MemoryBound: 0
; FloatMode: 240
; IeeeMode: 1
; LDSByteSize: 0 bytes/workgroup (compile time only)
; SGPRBlocks: 0
; VGPRBlocks: 0
; NumSGPRsForWavesPerEU: 1
; NumVGPRsForWavesPerEU: 1
; NamedBarCnt: 0
; Occupancy: 16
; WaveLimiterHint : 0
; COMPUTE_PGM_RSRC2:SCRATCH_EN: 0
; COMPUTE_PGM_RSRC2:USER_SGPR: 2
; COMPUTE_PGM_RSRC2:TRAP_HANDLER: 0
; COMPUTE_PGM_RSRC2:TGID_X_EN: 1
; COMPUTE_PGM_RSRC2:TGID_Y_EN: 0
; COMPUTE_PGM_RSRC2:TGID_Z_EN: 0
; COMPUTE_PGM_RSRC2:TIDIG_COMP_CNT: 0
	.section	.text._ZN9rocsolver6v33100L16mfma_gemm_kernelI19rocblas_complex_numIfEiS3_PKPS3_S6_S6_EEv18rocblas_operation_S7_T0_S8_S8_T1_T2_lS8_S8_lT3_lS8_S8_lS9_T4_lS8_S8_l,"axG",@progbits,_ZN9rocsolver6v33100L16mfma_gemm_kernelI19rocblas_complex_numIfEiS3_PKPS3_S6_S6_EEv18rocblas_operation_S7_T0_S8_S8_T1_T2_lS8_S8_lT3_lS8_S8_lS9_T4_lS8_S8_l,comdat
	.globl	_ZN9rocsolver6v33100L16mfma_gemm_kernelI19rocblas_complex_numIfEiS3_PKPS3_S6_S6_EEv18rocblas_operation_S7_T0_S8_S8_T1_T2_lS8_S8_lT3_lS8_S8_lS9_T4_lS8_S8_l ; -- Begin function _ZN9rocsolver6v33100L16mfma_gemm_kernelI19rocblas_complex_numIfEiS3_PKPS3_S6_S6_EEv18rocblas_operation_S7_T0_S8_S8_T1_T2_lS8_S8_lT3_lS8_S8_lS9_T4_lS8_S8_l
	.p2align	8
	.type	_ZN9rocsolver6v33100L16mfma_gemm_kernelI19rocblas_complex_numIfEiS3_PKPS3_S6_S6_EEv18rocblas_operation_S7_T0_S8_S8_T1_T2_lS8_S8_lT3_lS8_S8_lS9_T4_lS8_S8_l,@function
_ZN9rocsolver6v33100L16mfma_gemm_kernelI19rocblas_complex_numIfEiS3_PKPS3_S6_S6_EEv18rocblas_operation_S7_T0_S8_S8_T1_T2_lS8_S8_lT3_lS8_S8_lS9_T4_lS8_S8_l: ; @_ZN9rocsolver6v33100L16mfma_gemm_kernelI19rocblas_complex_numIfEiS3_PKPS3_S6_S6_EEv18rocblas_operation_S7_T0_S8_S8_T1_T2_lS8_S8_lT3_lS8_S8_lS9_T4_lS8_S8_l
; %bb.0:
	s_endpgm
	.section	.rodata,"a",@progbits
	.p2align	6, 0x0
	.amdhsa_kernel _ZN9rocsolver6v33100L16mfma_gemm_kernelI19rocblas_complex_numIfEiS3_PKPS3_S6_S6_EEv18rocblas_operation_S7_T0_S8_S8_T1_T2_lS8_S8_lT3_lS8_S8_lS9_T4_lS8_S8_l
		.amdhsa_group_segment_fixed_size 0
		.amdhsa_private_segment_fixed_size 0
		.amdhsa_kernarg_size 136
		.amdhsa_user_sgpr_count 2
		.amdhsa_user_sgpr_dispatch_ptr 0
		.amdhsa_user_sgpr_queue_ptr 0
		.amdhsa_user_sgpr_kernarg_segment_ptr 1
		.amdhsa_user_sgpr_dispatch_id 0
		.amdhsa_user_sgpr_kernarg_preload_length 0
		.amdhsa_user_sgpr_kernarg_preload_offset 0
		.amdhsa_user_sgpr_private_segment_size 0
		.amdhsa_wavefront_size32 1
		.amdhsa_uses_dynamic_stack 0
		.amdhsa_enable_private_segment 0
		.amdhsa_system_sgpr_workgroup_id_x 1
		.amdhsa_system_sgpr_workgroup_id_y 0
		.amdhsa_system_sgpr_workgroup_id_z 0
		.amdhsa_system_sgpr_workgroup_info 0
		.amdhsa_system_vgpr_workitem_id 0
		.amdhsa_next_free_vgpr 1
		.amdhsa_next_free_sgpr 1
		.amdhsa_named_barrier_count 0
		.amdhsa_reserve_vcc 0
		.amdhsa_float_round_mode_32 0
		.amdhsa_float_round_mode_16_64 0
		.amdhsa_float_denorm_mode_32 3
		.amdhsa_float_denorm_mode_16_64 3
		.amdhsa_fp16_overflow 0
		.amdhsa_memory_ordered 1
		.amdhsa_forward_progress 1
		.amdhsa_inst_pref_size 1
		.amdhsa_round_robin_scheduling 0
		.amdhsa_exception_fp_ieee_invalid_op 0
		.amdhsa_exception_fp_denorm_src 0
		.amdhsa_exception_fp_ieee_div_zero 0
		.amdhsa_exception_fp_ieee_overflow 0
		.amdhsa_exception_fp_ieee_underflow 0
		.amdhsa_exception_fp_ieee_inexact 0
		.amdhsa_exception_int_div_zero 0
	.end_amdhsa_kernel
	.section	.text._ZN9rocsolver6v33100L16mfma_gemm_kernelI19rocblas_complex_numIfEiS3_PKPS3_S6_S6_EEv18rocblas_operation_S7_T0_S8_S8_T1_T2_lS8_S8_lT3_lS8_S8_lS9_T4_lS8_S8_l,"axG",@progbits,_ZN9rocsolver6v33100L16mfma_gemm_kernelI19rocblas_complex_numIfEiS3_PKPS3_S6_S6_EEv18rocblas_operation_S7_T0_S8_S8_T1_T2_lS8_S8_lT3_lS8_S8_lS9_T4_lS8_S8_l,comdat
.Lfunc_end5:
	.size	_ZN9rocsolver6v33100L16mfma_gemm_kernelI19rocblas_complex_numIfEiS3_PKPS3_S6_S6_EEv18rocblas_operation_S7_T0_S8_S8_T1_T2_lS8_S8_lT3_lS8_S8_lS9_T4_lS8_S8_l, .Lfunc_end5-_ZN9rocsolver6v33100L16mfma_gemm_kernelI19rocblas_complex_numIfEiS3_PKPS3_S6_S6_EEv18rocblas_operation_S7_T0_S8_S8_T1_T2_lS8_S8_lT3_lS8_S8_lS9_T4_lS8_S8_l
                                        ; -- End function
	.set _ZN9rocsolver6v33100L16mfma_gemm_kernelI19rocblas_complex_numIfEiS3_PKPS3_S6_S6_EEv18rocblas_operation_S7_T0_S8_S8_T1_T2_lS8_S8_lT3_lS8_S8_lS9_T4_lS8_S8_l.num_vgpr, 0
	.set _ZN9rocsolver6v33100L16mfma_gemm_kernelI19rocblas_complex_numIfEiS3_PKPS3_S6_S6_EEv18rocblas_operation_S7_T0_S8_S8_T1_T2_lS8_S8_lT3_lS8_S8_lS9_T4_lS8_S8_l.num_agpr, 0
	.set _ZN9rocsolver6v33100L16mfma_gemm_kernelI19rocblas_complex_numIfEiS3_PKPS3_S6_S6_EEv18rocblas_operation_S7_T0_S8_S8_T1_T2_lS8_S8_lT3_lS8_S8_lS9_T4_lS8_S8_l.numbered_sgpr, 0
	.set _ZN9rocsolver6v33100L16mfma_gemm_kernelI19rocblas_complex_numIfEiS3_PKPS3_S6_S6_EEv18rocblas_operation_S7_T0_S8_S8_T1_T2_lS8_S8_lT3_lS8_S8_lS9_T4_lS8_S8_l.num_named_barrier, 0
	.set _ZN9rocsolver6v33100L16mfma_gemm_kernelI19rocblas_complex_numIfEiS3_PKPS3_S6_S6_EEv18rocblas_operation_S7_T0_S8_S8_T1_T2_lS8_S8_lT3_lS8_S8_lS9_T4_lS8_S8_l.private_seg_size, 0
	.set _ZN9rocsolver6v33100L16mfma_gemm_kernelI19rocblas_complex_numIfEiS3_PKPS3_S6_S6_EEv18rocblas_operation_S7_T0_S8_S8_T1_T2_lS8_S8_lT3_lS8_S8_lS9_T4_lS8_S8_l.uses_vcc, 0
	.set _ZN9rocsolver6v33100L16mfma_gemm_kernelI19rocblas_complex_numIfEiS3_PKPS3_S6_S6_EEv18rocblas_operation_S7_T0_S8_S8_T1_T2_lS8_S8_lT3_lS8_S8_lS9_T4_lS8_S8_l.uses_flat_scratch, 0
	.set _ZN9rocsolver6v33100L16mfma_gemm_kernelI19rocblas_complex_numIfEiS3_PKPS3_S6_S6_EEv18rocblas_operation_S7_T0_S8_S8_T1_T2_lS8_S8_lT3_lS8_S8_lS9_T4_lS8_S8_l.has_dyn_sized_stack, 0
	.set _ZN9rocsolver6v33100L16mfma_gemm_kernelI19rocblas_complex_numIfEiS3_PKPS3_S6_S6_EEv18rocblas_operation_S7_T0_S8_S8_T1_T2_lS8_S8_lT3_lS8_S8_lS9_T4_lS8_S8_l.has_recursion, 0
	.set _ZN9rocsolver6v33100L16mfma_gemm_kernelI19rocblas_complex_numIfEiS3_PKPS3_S6_S6_EEv18rocblas_operation_S7_T0_S8_S8_T1_T2_lS8_S8_lT3_lS8_S8_lS9_T4_lS8_S8_l.has_indirect_call, 0
	.section	.AMDGPU.csdata,"",@progbits
; Kernel info:
; codeLenInByte = 4
; TotalNumSgprs: 0
; NumVgprs: 0
; ScratchSize: 0
; MemoryBound: 0
; FloatMode: 240
; IeeeMode: 1
; LDSByteSize: 0 bytes/workgroup (compile time only)
; SGPRBlocks: 0
; VGPRBlocks: 0
; NumSGPRsForWavesPerEU: 1
; NumVGPRsForWavesPerEU: 1
; NamedBarCnt: 0
; Occupancy: 16
; WaveLimiterHint : 0
; COMPUTE_PGM_RSRC2:SCRATCH_EN: 0
; COMPUTE_PGM_RSRC2:USER_SGPR: 2
; COMPUTE_PGM_RSRC2:TRAP_HANDLER: 0
; COMPUTE_PGM_RSRC2:TGID_X_EN: 1
; COMPUTE_PGM_RSRC2:TGID_Y_EN: 0
; COMPUTE_PGM_RSRC2:TGID_Z_EN: 0
; COMPUTE_PGM_RSRC2:TIDIG_COMP_CNT: 0
	.section	.text._ZN9rocsolver6v33100L11gemm_kernelI19rocblas_complex_numIfEiPKS3_PKPS3_S8_S8_EEvT0_S9_S9_T1_bT2_lS9_S9_lbT3_lS9_S9_lSA_T4_lS9_S9_l,"axG",@progbits,_ZN9rocsolver6v33100L11gemm_kernelI19rocblas_complex_numIfEiPKS3_PKPS3_S8_S8_EEvT0_S9_S9_T1_bT2_lS9_S9_lbT3_lS9_S9_lSA_T4_lS9_S9_l,comdat
	.globl	_ZN9rocsolver6v33100L11gemm_kernelI19rocblas_complex_numIfEiPKS3_PKPS3_S8_S8_EEvT0_S9_S9_T1_bT2_lS9_S9_lbT3_lS9_S9_lSA_T4_lS9_S9_l ; -- Begin function _ZN9rocsolver6v33100L11gemm_kernelI19rocblas_complex_numIfEiPKS3_PKPS3_S8_S8_EEvT0_S9_S9_T1_bT2_lS9_S9_lbT3_lS9_S9_lSA_T4_lS9_S9_l
	.p2align	8
	.type	_ZN9rocsolver6v33100L11gemm_kernelI19rocblas_complex_numIfEiPKS3_PKPS3_S8_S8_EEvT0_S9_S9_T1_bT2_lS9_S9_lbT3_lS9_S9_lSA_T4_lS9_S9_l,@function
_ZN9rocsolver6v33100L11gemm_kernelI19rocblas_complex_numIfEiPKS3_PKPS3_S8_S8_EEvT0_S9_S9_T1_bT2_lS9_S9_lbT3_lS9_S9_lSA_T4_lS9_S9_l: ; @_ZN9rocsolver6v33100L11gemm_kernelI19rocblas_complex_numIfEiPKS3_PKPS3_S8_S8_EEvT0_S9_S9_T1_bT2_lS9_S9_lbT3_lS9_S9_lSA_T4_lS9_S9_l
; %bb.0:
	s_clause 0x1
	s_load_b32 s2, s[0:1], 0x9c
	s_load_b96 s[8:10], s[0:1], 0x0
	s_bfe_u32 s4, ttmp6, 0x4000c
	s_bfe_u32 s6, ttmp6, 0x40010
	s_and_b32 s5, ttmp7, 0xffff
	s_add_co_i32 s4, s4, 1
	s_add_co_i32 s6, s6, 1
	s_and_b32 s3, ttmp6, 15
	s_bfe_u32 s7, ttmp6, 0x40004
	s_mul_i32 s4, ttmp9, s4
	s_mul_i32 s6, s5, s6
	s_getreg_b32 s11, hwreg(HW_REG_IB_STS2, 6, 4)
	v_bfe_u32 v2, v0, 10, 10
	v_and_b32_e32 v0, 0x3ff, v0
	s_add_co_i32 s3, s3, s4
	s_add_co_i32 s7, s7, s6
	s_wait_kmcnt 0x0
	s_and_b32 s4, s2, 0xffff
	s_lshr_b32 s2, s2, 16
	s_cmp_eq_u32 s11, 0
	s_cselect_b32 s3, ttmp9, s3
	s_cselect_b32 s5, s5, s7
	v_mad_u32 v1, s3, s4, v0
	v_mad_u32 v3, s5, s2, v2
	s_delay_alu instid0(VALU_DEP_2) | instskip(NEXT) | instid1(VALU_DEP_2)
	v_cmp_gt_i32_e32 vcc_lo, s8, v1
	v_cmp_gt_i32_e64 s2, s9, v3
	s_and_b32 s2, vcc_lo, s2
	s_delay_alu instid0(SALU_CYCLE_1)
	s_and_saveexec_b32 s3, s2
	s_cbranch_execz .LBB6_10
; %bb.1:
	s_clause 0x2
	s_load_b64 s[14:15], s[0:1], 0x10
	s_load_b128 s[4:7], s[0:1], 0x68
	s_load_b64 s[8:9], s[0:1], 0x78
	s_wait_kmcnt 0x0
	s_load_b64 s[12:13], s[14:15], 0x0
	s_load_b64 s[2:3], s[4:5], 0x0
	s_wait_xcnt 0x0
	s_bfe_u32 s4, ttmp6, 0x40014
	s_lshr_b32 s5, ttmp7, 16
	s_add_co_i32 s4, s4, 1
	s_bfe_u32 s14, ttmp6, 0x40008
	s_mul_i32 s4, s5, s4
	s_delay_alu instid0(SALU_CYCLE_1)
	s_add_co_i32 s14, s14, s4
	s_cmp_eq_u32 s11, 0
	s_cselect_b32 s11, s5, s14
	s_cmp_lt_i32 s10, 1
	s_cbranch_scc1 .LBB6_8
; %bb.2:
	s_clause 0x5
	s_load_b128 s[16:19], s[0:1], 0x20
	s_load_b128 s[20:23], s[0:1], 0x48
	s_load_b32 s28, s[0:1], 0x18
	s_load_b64 s[4:5], s[0:1], 0x30
	s_load_b64 s[14:15], s[0:1], 0x58
	s_load_b32 s29, s[0:1], 0x40
	v_dual_mov_b32 v0, 0 :: v_dual_mov_b32 v2, 0
	s_wait_kmcnt 0x0
	s_load_b64 s[24:25], s[16:17], s11 offset:0x0 scale_offset
	s_load_b64 s[26:27], s[20:21], s11 offset:0x0 scale_offset
	s_bitcmp1_b32 s28, 0
	v_mul_lo_u32 v4, v1, s4
	v_mul_lo_u32 v10, v3, s15
	s_cselect_b32 s4, -1, 0
	s_delay_alu instid0(SALU_CYCLE_1)
	s_xor_b32 s4, s4, -1
	s_bitcmp1_b32 s29, 0
	s_cselect_b32 s15, -1, 0
	s_wait_xcnt 0x0
	s_lshl_b64 s[16:17], s[18:19], 3
	s_lshl_b64 s[18:19], s[22:23], 3
	s_wait_kmcnt 0x0
	s_add_nc_u64 s[16:17], s[24:25], s[16:17]
	s_add_nc_u64 s[18:19], s[26:27], s[18:19]
	s_branch .LBB6_4
.LBB6_3:                                ;   in Loop: Header=BB6_4 Depth=1
	flat_load_b64 v[8:9], v10, s[18:19] scale_offset
	s_add_co_i32 s10, s10, -1
	v_add_nc_u32_e32 v4, s5, v4
	s_cmp_eq_u32 s10, 0
	s_wait_loadcnt_dscnt 0x0
	v_dual_cndmask_b32 v5, v9, -v9, s15 :: v_dual_mul_f32 v9, v7, v8
	s_delay_alu instid0(VALU_DEP_1) | instskip(SKIP_1) | instid1(VALU_DEP_2)
	v_dual_mul_f32 v7, v7, v5 :: v_dual_fmac_f32 v9, v5, v6
	v_add_nc_u32_e32 v10, s14, v10
	v_fma_f32 v5, v8, v6, -v7
	s_delay_alu instid0(VALU_DEP_3) | instskip(NEXT) | instid1(VALU_DEP_2)
	v_add_f32_e32 v0, v0, v9
	v_add_f32_e32 v2, v2, v5
	s_cbranch_scc1 .LBB6_9
.LBB6_4:                                ; =>This Inner Loop Header: Depth=1
	v_ashrrev_i32_e32 v5, 31, v4
	s_and_b32 vcc_lo, exec_lo, s4
	s_mov_b32 s20, -1
                                        ; implicit-def: $vgpr7
	s_delay_alu instid0(VALU_DEP_1)
	v_lshl_add_u64 v[8:9], v[4:5], 3, s[16:17]
	s_cbranch_vccz .LBB6_6
; %bb.5:                                ;   in Loop: Header=BB6_4 Depth=1
	flat_load_b64 v[6:7], v[8:9]
	s_mov_b32 s20, 0
.LBB6_6:                                ;   in Loop: Header=BB6_4 Depth=1
	s_delay_alu instid0(SALU_CYCLE_1)
	s_and_not1_b32 vcc_lo, exec_lo, s20
	s_cbranch_vccnz .LBB6_3
; %bb.7:                                ;   in Loop: Header=BB6_4 Depth=1
	s_wait_loadcnt_dscnt 0x0
	flat_load_b64 v[6:7], v[8:9]
	s_wait_loadcnt_dscnt 0x0
	v_xor_b32_e32 v7, 0x80000000, v7
	s_branch .LBB6_3
.LBB6_8:
	v_dual_mov_b32 v0, 0 :: v_dual_mov_b32 v2, 0
.LBB6_9:
	s_load_b64 s[4:5], s[6:7], s11 offset:0x0 scale_offset
	s_nop 0
	s_load_b64 s[0:1], s[0:1], 0x80
	s_wait_kmcnt 0x0
	v_mov_b64_e32 v[6:7], s[12:13]
	v_mov_b64_e32 v[8:9], s[2:3]
	v_mul_lo_u32 v1, v1, s0
	s_delay_alu instid0(VALU_DEP_1) | instskip(SKIP_1) | instid1(VALU_DEP_4)
	v_mad_u32 v16, v3, s1, v1
	s_lshl_b64 s[0:1], s[8:9], 3
	v_pk_mul_f32 v[0:1], v[6:7], v[0:1] op_sel:[1,0] op_sel_hi:[0,0]
	s_add_nc_u64 s[0:1], s[4:5], s[0:1]
	s_delay_alu instid0(VALU_DEP_1) | instskip(SKIP_4) | instid1(VALU_DEP_1)
	v_pk_fma_f32 v[12:13], v[6:7], v[2:3], v[0:1] op_sel_hi:[1,0,1]
	v_pk_fma_f32 v[0:1], v[6:7], v[2:3], v[0:1] neg_lo:[0,0,1] neg_hi:[0,0,1]
	flat_load_b64 v[4:5], v16, s[0:1] scale_offset
	s_wait_loadcnt_dscnt 0x0
	v_pk_mul_f32 v[10:11], v[8:9], v[4:5] op_sel:[1,1] op_sel_hi:[0,1]
	v_pk_fma_f32 v[14:15], v[8:9], v[4:5], v[10:11] op_sel_hi:[1,0,1]
	v_pk_fma_f32 v[2:3], v[8:9], v[4:5], v[10:11] neg_lo:[0,0,1] neg_hi:[0,0,1]
	s_delay_alu instid0(VALU_DEP_2) | instskip(NEXT) | instid1(VALU_DEP_1)
	v_dual_mov_b32 v1, v13 :: v_dual_mov_b32 v3, v15
	v_pk_add_f32 v[0:1], v[0:1], v[2:3]
	flat_store_b64 v16, v[0:1], s[0:1] scale_offset
.LBB6_10:
	s_endpgm
	.section	.rodata,"a",@progbits
	.p2align	6, 0x0
	.amdhsa_kernel _ZN9rocsolver6v33100L11gemm_kernelI19rocblas_complex_numIfEiPKS3_PKPS3_S8_S8_EEvT0_S9_S9_T1_bT2_lS9_S9_lbT3_lS9_S9_lSA_T4_lS9_S9_l
		.amdhsa_group_segment_fixed_size 0
		.amdhsa_private_segment_fixed_size 0
		.amdhsa_kernarg_size 400
		.amdhsa_user_sgpr_count 2
		.amdhsa_user_sgpr_dispatch_ptr 0
		.amdhsa_user_sgpr_queue_ptr 0
		.amdhsa_user_sgpr_kernarg_segment_ptr 1
		.amdhsa_user_sgpr_dispatch_id 0
		.amdhsa_user_sgpr_kernarg_preload_length 0
		.amdhsa_user_sgpr_kernarg_preload_offset 0
		.amdhsa_user_sgpr_private_segment_size 0
		.amdhsa_wavefront_size32 1
		.amdhsa_uses_dynamic_stack 0
		.amdhsa_enable_private_segment 0
		.amdhsa_system_sgpr_workgroup_id_x 1
		.amdhsa_system_sgpr_workgroup_id_y 1
		.amdhsa_system_sgpr_workgroup_id_z 1
		.amdhsa_system_sgpr_workgroup_info 0
		.amdhsa_system_vgpr_workitem_id 1
		.amdhsa_next_free_vgpr 17
		.amdhsa_next_free_sgpr 30
		.amdhsa_named_barrier_count 0
		.amdhsa_reserve_vcc 1
		.amdhsa_float_round_mode_32 0
		.amdhsa_float_round_mode_16_64 0
		.amdhsa_float_denorm_mode_32 3
		.amdhsa_float_denorm_mode_16_64 3
		.amdhsa_fp16_overflow 0
		.amdhsa_memory_ordered 1
		.amdhsa_forward_progress 1
		.amdhsa_inst_pref_size 7
		.amdhsa_round_robin_scheduling 0
		.amdhsa_exception_fp_ieee_invalid_op 0
		.amdhsa_exception_fp_denorm_src 0
		.amdhsa_exception_fp_ieee_div_zero 0
		.amdhsa_exception_fp_ieee_overflow 0
		.amdhsa_exception_fp_ieee_underflow 0
		.amdhsa_exception_fp_ieee_inexact 0
		.amdhsa_exception_int_div_zero 0
	.end_amdhsa_kernel
	.section	.text._ZN9rocsolver6v33100L11gemm_kernelI19rocblas_complex_numIfEiPKS3_PKPS3_S8_S8_EEvT0_S9_S9_T1_bT2_lS9_S9_lbT3_lS9_S9_lSA_T4_lS9_S9_l,"axG",@progbits,_ZN9rocsolver6v33100L11gemm_kernelI19rocblas_complex_numIfEiPKS3_PKPS3_S8_S8_EEvT0_S9_S9_T1_bT2_lS9_S9_lbT3_lS9_S9_lSA_T4_lS9_S9_l,comdat
.Lfunc_end6:
	.size	_ZN9rocsolver6v33100L11gemm_kernelI19rocblas_complex_numIfEiPKS3_PKPS3_S8_S8_EEvT0_S9_S9_T1_bT2_lS9_S9_lbT3_lS9_S9_lSA_T4_lS9_S9_l, .Lfunc_end6-_ZN9rocsolver6v33100L11gemm_kernelI19rocblas_complex_numIfEiPKS3_PKPS3_S8_S8_EEvT0_S9_S9_T1_bT2_lS9_S9_lbT3_lS9_S9_lSA_T4_lS9_S9_l
                                        ; -- End function
	.set _ZN9rocsolver6v33100L11gemm_kernelI19rocblas_complex_numIfEiPKS3_PKPS3_S8_S8_EEvT0_S9_S9_T1_bT2_lS9_S9_lbT3_lS9_S9_lSA_T4_lS9_S9_l.num_vgpr, 17
	.set _ZN9rocsolver6v33100L11gemm_kernelI19rocblas_complex_numIfEiPKS3_PKPS3_S8_S8_EEvT0_S9_S9_T1_bT2_lS9_S9_lbT3_lS9_S9_lSA_T4_lS9_S9_l.num_agpr, 0
	.set _ZN9rocsolver6v33100L11gemm_kernelI19rocblas_complex_numIfEiPKS3_PKPS3_S8_S8_EEvT0_S9_S9_T1_bT2_lS9_S9_lbT3_lS9_S9_lSA_T4_lS9_S9_l.numbered_sgpr, 30
	.set _ZN9rocsolver6v33100L11gemm_kernelI19rocblas_complex_numIfEiPKS3_PKPS3_S8_S8_EEvT0_S9_S9_T1_bT2_lS9_S9_lbT3_lS9_S9_lSA_T4_lS9_S9_l.num_named_barrier, 0
	.set _ZN9rocsolver6v33100L11gemm_kernelI19rocblas_complex_numIfEiPKS3_PKPS3_S8_S8_EEvT0_S9_S9_T1_bT2_lS9_S9_lbT3_lS9_S9_lSA_T4_lS9_S9_l.private_seg_size, 0
	.set _ZN9rocsolver6v33100L11gemm_kernelI19rocblas_complex_numIfEiPKS3_PKPS3_S8_S8_EEvT0_S9_S9_T1_bT2_lS9_S9_lbT3_lS9_S9_lSA_T4_lS9_S9_l.uses_vcc, 1
	.set _ZN9rocsolver6v33100L11gemm_kernelI19rocblas_complex_numIfEiPKS3_PKPS3_S8_S8_EEvT0_S9_S9_T1_bT2_lS9_S9_lbT3_lS9_S9_lSA_T4_lS9_S9_l.uses_flat_scratch, 0
	.set _ZN9rocsolver6v33100L11gemm_kernelI19rocblas_complex_numIfEiPKS3_PKPS3_S8_S8_EEvT0_S9_S9_T1_bT2_lS9_S9_lbT3_lS9_S9_lSA_T4_lS9_S9_l.has_dyn_sized_stack, 0
	.set _ZN9rocsolver6v33100L11gemm_kernelI19rocblas_complex_numIfEiPKS3_PKPS3_S8_S8_EEvT0_S9_S9_T1_bT2_lS9_S9_lbT3_lS9_S9_lSA_T4_lS9_S9_l.has_recursion, 0
	.set _ZN9rocsolver6v33100L11gemm_kernelI19rocblas_complex_numIfEiPKS3_PKPS3_S8_S8_EEvT0_S9_S9_T1_bT2_lS9_S9_lbT3_lS9_S9_lSA_T4_lS9_S9_l.has_indirect_call, 0
	.section	.AMDGPU.csdata,"",@progbits
; Kernel info:
; codeLenInByte = 784
; TotalNumSgprs: 32
; NumVgprs: 17
; ScratchSize: 0
; MemoryBound: 0
; FloatMode: 240
; IeeeMode: 1
; LDSByteSize: 0 bytes/workgroup (compile time only)
; SGPRBlocks: 0
; VGPRBlocks: 1
; NumSGPRsForWavesPerEU: 32
; NumVGPRsForWavesPerEU: 17
; NamedBarCnt: 0
; Occupancy: 16
; WaveLimiterHint : 1
; COMPUTE_PGM_RSRC2:SCRATCH_EN: 0
; COMPUTE_PGM_RSRC2:USER_SGPR: 2
; COMPUTE_PGM_RSRC2:TRAP_HANDLER: 0
; COMPUTE_PGM_RSRC2:TGID_X_EN: 1
; COMPUTE_PGM_RSRC2:TGID_Y_EN: 1
; COMPUTE_PGM_RSRC2:TGID_Z_EN: 1
; COMPUTE_PGM_RSRC2:TIDIG_COMP_CNT: 1
	.section	.text._ZN9rocsolver6v33100L11gemm_kernelI19rocblas_complex_numIfEiS3_PKPS3_S6_S6_EEvT0_S7_S7_T1_bT2_lS7_S7_lbT3_lS7_S7_lS8_T4_lS7_S7_l,"axG",@progbits,_ZN9rocsolver6v33100L11gemm_kernelI19rocblas_complex_numIfEiS3_PKPS3_S6_S6_EEvT0_S7_S7_T1_bT2_lS7_S7_lbT3_lS7_S7_lS8_T4_lS7_S7_l,comdat
	.globl	_ZN9rocsolver6v33100L11gemm_kernelI19rocblas_complex_numIfEiS3_PKPS3_S6_S6_EEvT0_S7_S7_T1_bT2_lS7_S7_lbT3_lS7_S7_lS8_T4_lS7_S7_l ; -- Begin function _ZN9rocsolver6v33100L11gemm_kernelI19rocblas_complex_numIfEiS3_PKPS3_S6_S6_EEvT0_S7_S7_T1_bT2_lS7_S7_lbT3_lS7_S7_lS8_T4_lS7_S7_l
	.p2align	8
	.type	_ZN9rocsolver6v33100L11gemm_kernelI19rocblas_complex_numIfEiS3_PKPS3_S6_S6_EEvT0_S7_S7_T1_bT2_lS7_S7_lbT3_lS7_S7_lS8_T4_lS7_S7_l,@function
_ZN9rocsolver6v33100L11gemm_kernelI19rocblas_complex_numIfEiS3_PKPS3_S6_S6_EEvT0_S7_S7_T1_bT2_lS7_S7_lbT3_lS7_S7_lS8_T4_lS7_S7_l: ; @_ZN9rocsolver6v33100L11gemm_kernelI19rocblas_complex_numIfEiS3_PKPS3_S6_S6_EEvT0_S7_S7_T1_bT2_lS7_S7_lbT3_lS7_S7_lS8_T4_lS7_S7_l
; %bb.0:
	s_clause 0x1
	s_load_b32 s2, s[0:1], 0x94
	s_load_b128 s[4:7], s[0:1], 0x0
	s_bfe_u32 s8, ttmp6, 0x4000c
	s_bfe_u32 s10, ttmp6, 0x40010
	s_and_b32 s9, ttmp7, 0xffff
	s_add_co_i32 s8, s8, 1
	s_add_co_i32 s10, s10, 1
	s_and_b32 s3, ttmp6, 15
	s_bfe_u32 s11, ttmp6, 0x40004
	s_mul_i32 s8, ttmp9, s8
	s_mul_i32 s10, s9, s10
	s_getreg_b32 s12, hwreg(HW_REG_IB_STS2, 6, 4)
	v_bfe_u32 v2, v0, 10, 10
	v_and_b32_e32 v0, 0x3ff, v0
	s_add_co_i32 s3, s3, s8
	s_add_co_i32 s11, s11, s10
	s_wait_kmcnt 0x0
	s_and_b32 s8, s2, 0xffff
	s_lshr_b32 s2, s2, 16
	s_cmp_eq_u32 s12, 0
	s_cselect_b32 s3, ttmp9, s3
	s_cselect_b32 s9, s9, s11
	v_mad_u32 v1, s3, s8, v0
	v_mad_u32 v3, s9, s2, v2
	s_delay_alu instid0(VALU_DEP_2) | instskip(NEXT) | instid1(VALU_DEP_2)
	v_cmp_gt_i32_e32 vcc_lo, s4, v1
	v_cmp_gt_i32_e64 s2, s5, v3
	s_and_b32 s2, vcc_lo, s2
	s_delay_alu instid0(SALU_CYCLE_1)
	s_and_saveexec_b32 s3, s2
	s_cbranch_execz .LBB7_10
; %bb.1:
	s_clause 0x2
	s_load_b64 s[2:3], s[0:1], 0x10
	s_load_b64 s[4:5], s[0:1], 0x60
	s_load_b128 s[8:11], s[0:1], 0x68
	s_bfe_u32 s13, ttmp6, 0x40014
	s_lshr_b32 s14, ttmp7, 16
	s_add_co_i32 s13, s13, 1
	s_bfe_u32 s15, ttmp6, 0x40008
	s_mul_i32 s13, s14, s13
	s_delay_alu instid0(SALU_CYCLE_1)
	s_add_co_i32 s15, s15, s13
	s_cmp_eq_u32 s12, 0
	s_cselect_b32 s20, s14, s15
	s_cmp_lt_i32 s6, 1
	s_cbranch_scc1 .LBB7_8
; %bb.2:
	s_clause 0x4
	s_load_b128 s[16:19], s[0:1], 0x18
	s_load_b128 s[24:27], s[0:1], 0x40
	s_load_b64 s[12:13], s[0:1], 0x28
	s_load_b64 s[14:15], s[0:1], 0x50
	s_load_b32 s21, s[0:1], 0x38
	s_wait_kmcnt 0x0
	s_bitcmp1_b32 s3, 0
	v_dual_mov_b32 v0, 0 :: v_dual_mov_b32 v2, 0
	s_cselect_b32 s3, -1, 0
	s_load_b64 s[22:23], s[16:17], s20 offset:0x0 scale_offset
	s_load_b64 s[28:29], s[24:25], s20 offset:0x0 scale_offset
	v_mul_lo_u32 v4, v1, s12
	v_mul_lo_u32 v10, v3, s15
	s_xor_b32 s3, s3, -1
	s_bitcmp1_b32 s21, 0
	s_cselect_b32 s12, -1, 0
	s_wait_xcnt 0x0
	s_lshl_b64 s[16:17], s[18:19], 3
	s_lshl_b64 s[18:19], s[26:27], 3
	s_wait_kmcnt 0x0
	s_add_nc_u64 s[16:17], s[22:23], s[16:17]
	s_add_nc_u64 s[18:19], s[28:29], s[18:19]
	s_branch .LBB7_4
.LBB7_3:                                ;   in Loop: Header=BB7_4 Depth=1
	flat_load_b64 v[8:9], v10, s[18:19] scale_offset
	s_add_co_i32 s6, s6, -1
	v_add_nc_u32_e32 v4, s13, v4
	s_cmp_eq_u32 s6, 0
	s_wait_loadcnt_dscnt 0x0
	v_dual_cndmask_b32 v5, v9, -v9, s12 :: v_dual_mul_f32 v9, v7, v8
	s_delay_alu instid0(VALU_DEP_1) | instskip(SKIP_1) | instid1(VALU_DEP_2)
	v_dual_mul_f32 v7, v7, v5 :: v_dual_fmac_f32 v9, v5, v6
	v_add_nc_u32_e32 v10, s14, v10
	v_fma_f32 v5, v8, v6, -v7
	s_delay_alu instid0(VALU_DEP_3) | instskip(NEXT) | instid1(VALU_DEP_2)
	v_add_f32_e32 v0, v0, v9
	v_add_f32_e32 v2, v2, v5
	s_cbranch_scc1 .LBB7_9
.LBB7_4:                                ; =>This Inner Loop Header: Depth=1
	v_ashrrev_i32_e32 v5, 31, v4
	s_and_b32 vcc_lo, exec_lo, s3
	s_mov_b32 s15, -1
                                        ; implicit-def: $vgpr7
	s_delay_alu instid0(VALU_DEP_1)
	v_lshl_add_u64 v[8:9], v[4:5], 3, s[16:17]
	s_cbranch_vccz .LBB7_6
; %bb.5:                                ;   in Loop: Header=BB7_4 Depth=1
	flat_load_b64 v[6:7], v[8:9]
	s_mov_b32 s15, 0
.LBB7_6:                                ;   in Loop: Header=BB7_4 Depth=1
	s_delay_alu instid0(SALU_CYCLE_1)
	s_and_not1_b32 vcc_lo, exec_lo, s15
	s_cbranch_vccnz .LBB7_3
; %bb.7:                                ;   in Loop: Header=BB7_4 Depth=1
	s_wait_loadcnt_dscnt 0x0
	flat_load_b64 v[6:7], v[8:9]
	s_wait_loadcnt_dscnt 0x0
	v_xor_b32_e32 v7, 0x80000000, v7
	s_branch .LBB7_3
.LBB7_8:
	v_dual_mov_b32 v0, 0 :: v_dual_mov_b32 v2, 0
.LBB7_9:
	s_wait_kmcnt 0x0
	s_load_b64 s[8:9], s[8:9], s20 offset:0x0 scale_offset
	s_nop 0
	s_load_b64 s[0:1], s[0:1], 0x78
	v_dual_mov_b32 v6, s2 :: v_dual_mov_b32 v7, s7
	v_mov_b64_e32 v[8:9], s[4:5]
	s_mov_b32 s6, s7
	s_mov_b32 s7, s2
	s_wait_kmcnt 0x0
	v_mul_lo_u32 v1, v1, s0
	s_delay_alu instid0(VALU_DEP_1) | instskip(SKIP_4) | instid1(VALU_DEP_1)
	v_mad_u32 v16, v3, s1, v1
	s_lshl_b64 s[0:1], s[10:11], 3
	v_pk_mul_f32 v[0:1], v[6:7], v[0:1] op_sel_hi:[1,0]
	s_add_nc_u64 s[0:1], s[8:9], s[0:1]
	v_mov_b64_e32 v[6:7], s[6:7]
	v_pk_fma_f32 v[12:13], v[6:7], v[2:3], v[0:1] op_sel_hi:[1,0,1]
	flat_load_b64 v[4:5], v16, s[0:1] scale_offset
	v_pk_fma_f32 v[0:1], v[6:7], v[2:3], v[0:1] neg_lo:[0,0,1] neg_hi:[0,0,1]
	s_wait_loadcnt_dscnt 0x0
	v_pk_mul_f32 v[10:11], v[8:9], v[4:5] op_sel:[1,1] op_sel_hi:[0,1]
	s_delay_alu instid0(VALU_DEP_1) | instskip(SKIP_1) | instid1(VALU_DEP_2)
	v_pk_fma_f32 v[14:15], v[8:9], v[4:5], v[10:11] op_sel_hi:[1,0,1]
	v_pk_fma_f32 v[2:3], v[8:9], v[4:5], v[10:11] neg_lo:[0,0,1] neg_hi:[0,0,1]
	v_dual_mov_b32 v1, v13 :: v_dual_mov_b32 v3, v15
	s_delay_alu instid0(VALU_DEP_1)
	v_pk_add_f32 v[0:1], v[0:1], v[2:3]
	flat_store_b64 v16, v[0:1], s[0:1] scale_offset
.LBB7_10:
	s_endpgm
	.section	.rodata,"a",@progbits
	.p2align	6, 0x0
	.amdhsa_kernel _ZN9rocsolver6v33100L11gemm_kernelI19rocblas_complex_numIfEiS3_PKPS3_S6_S6_EEvT0_S7_S7_T1_bT2_lS7_S7_lbT3_lS7_S7_lS8_T4_lS7_S7_l
		.amdhsa_group_segment_fixed_size 0
		.amdhsa_private_segment_fixed_size 0
		.amdhsa_kernarg_size 392
		.amdhsa_user_sgpr_count 2
		.amdhsa_user_sgpr_dispatch_ptr 0
		.amdhsa_user_sgpr_queue_ptr 0
		.amdhsa_user_sgpr_kernarg_segment_ptr 1
		.amdhsa_user_sgpr_dispatch_id 0
		.amdhsa_user_sgpr_kernarg_preload_length 0
		.amdhsa_user_sgpr_kernarg_preload_offset 0
		.amdhsa_user_sgpr_private_segment_size 0
		.amdhsa_wavefront_size32 1
		.amdhsa_uses_dynamic_stack 0
		.amdhsa_enable_private_segment 0
		.amdhsa_system_sgpr_workgroup_id_x 1
		.amdhsa_system_sgpr_workgroup_id_y 1
		.amdhsa_system_sgpr_workgroup_id_z 1
		.amdhsa_system_sgpr_workgroup_info 0
		.amdhsa_system_vgpr_workitem_id 1
		.amdhsa_next_free_vgpr 17
		.amdhsa_next_free_sgpr 30
		.amdhsa_named_barrier_count 0
		.amdhsa_reserve_vcc 1
		.amdhsa_float_round_mode_32 0
		.amdhsa_float_round_mode_16_64 0
		.amdhsa_float_denorm_mode_32 3
		.amdhsa_float_denorm_mode_16_64 3
		.amdhsa_fp16_overflow 0
		.amdhsa_memory_ordered 1
		.amdhsa_forward_progress 1
		.amdhsa_inst_pref_size 6
		.amdhsa_round_robin_scheduling 0
		.amdhsa_exception_fp_ieee_invalid_op 0
		.amdhsa_exception_fp_denorm_src 0
		.amdhsa_exception_fp_ieee_div_zero 0
		.amdhsa_exception_fp_ieee_overflow 0
		.amdhsa_exception_fp_ieee_underflow 0
		.amdhsa_exception_fp_ieee_inexact 0
		.amdhsa_exception_int_div_zero 0
	.end_amdhsa_kernel
	.section	.text._ZN9rocsolver6v33100L11gemm_kernelI19rocblas_complex_numIfEiS3_PKPS3_S6_S6_EEvT0_S7_S7_T1_bT2_lS7_S7_lbT3_lS7_S7_lS8_T4_lS7_S7_l,"axG",@progbits,_ZN9rocsolver6v33100L11gemm_kernelI19rocblas_complex_numIfEiS3_PKPS3_S6_S6_EEvT0_S7_S7_T1_bT2_lS7_S7_lbT3_lS7_S7_lS8_T4_lS7_S7_l,comdat
.Lfunc_end7:
	.size	_ZN9rocsolver6v33100L11gemm_kernelI19rocblas_complex_numIfEiS3_PKPS3_S6_S6_EEvT0_S7_S7_T1_bT2_lS7_S7_lbT3_lS7_S7_lS8_T4_lS7_S7_l, .Lfunc_end7-_ZN9rocsolver6v33100L11gemm_kernelI19rocblas_complex_numIfEiS3_PKPS3_S6_S6_EEvT0_S7_S7_T1_bT2_lS7_S7_lbT3_lS7_S7_lS8_T4_lS7_S7_l
                                        ; -- End function
	.set _ZN9rocsolver6v33100L11gemm_kernelI19rocblas_complex_numIfEiS3_PKPS3_S6_S6_EEvT0_S7_S7_T1_bT2_lS7_S7_lbT3_lS7_S7_lS8_T4_lS7_S7_l.num_vgpr, 17
	.set _ZN9rocsolver6v33100L11gemm_kernelI19rocblas_complex_numIfEiS3_PKPS3_S6_S6_EEvT0_S7_S7_T1_bT2_lS7_S7_lbT3_lS7_S7_lS8_T4_lS7_S7_l.num_agpr, 0
	.set _ZN9rocsolver6v33100L11gemm_kernelI19rocblas_complex_numIfEiS3_PKPS3_S6_S6_EEvT0_S7_S7_T1_bT2_lS7_S7_lbT3_lS7_S7_lS8_T4_lS7_S7_l.numbered_sgpr, 30
	.set _ZN9rocsolver6v33100L11gemm_kernelI19rocblas_complex_numIfEiS3_PKPS3_S6_S6_EEvT0_S7_S7_T1_bT2_lS7_S7_lbT3_lS7_S7_lS8_T4_lS7_S7_l.num_named_barrier, 0
	.set _ZN9rocsolver6v33100L11gemm_kernelI19rocblas_complex_numIfEiS3_PKPS3_S6_S6_EEvT0_S7_S7_T1_bT2_lS7_S7_lbT3_lS7_S7_lS8_T4_lS7_S7_l.private_seg_size, 0
	.set _ZN9rocsolver6v33100L11gemm_kernelI19rocblas_complex_numIfEiS3_PKPS3_S6_S6_EEvT0_S7_S7_T1_bT2_lS7_S7_lbT3_lS7_S7_lS8_T4_lS7_S7_l.uses_vcc, 1
	.set _ZN9rocsolver6v33100L11gemm_kernelI19rocblas_complex_numIfEiS3_PKPS3_S6_S6_EEvT0_S7_S7_T1_bT2_lS7_S7_lbT3_lS7_S7_lS8_T4_lS7_S7_l.uses_flat_scratch, 0
	.set _ZN9rocsolver6v33100L11gemm_kernelI19rocblas_complex_numIfEiS3_PKPS3_S6_S6_EEvT0_S7_S7_T1_bT2_lS7_S7_lbT3_lS7_S7_lS8_T4_lS7_S7_l.has_dyn_sized_stack, 0
	.set _ZN9rocsolver6v33100L11gemm_kernelI19rocblas_complex_numIfEiS3_PKPS3_S6_S6_EEvT0_S7_S7_T1_bT2_lS7_S7_lbT3_lS7_S7_lS8_T4_lS7_S7_l.has_recursion, 0
	.set _ZN9rocsolver6v33100L11gemm_kernelI19rocblas_complex_numIfEiS3_PKPS3_S6_S6_EEvT0_S7_S7_T1_bT2_lS7_S7_lbT3_lS7_S7_lS8_T4_lS7_S7_l.has_indirect_call, 0
	.section	.AMDGPU.csdata,"",@progbits
; Kernel info:
; codeLenInByte = 768
; TotalNumSgprs: 32
; NumVgprs: 17
; ScratchSize: 0
; MemoryBound: 0
; FloatMode: 240
; IeeeMode: 1
; LDSByteSize: 0 bytes/workgroup (compile time only)
; SGPRBlocks: 0
; VGPRBlocks: 1
; NumSGPRsForWavesPerEU: 32
; NumVGPRsForWavesPerEU: 17
; NamedBarCnt: 0
; Occupancy: 16
; WaveLimiterHint : 1
; COMPUTE_PGM_RSRC2:SCRATCH_EN: 0
; COMPUTE_PGM_RSRC2:USER_SGPR: 2
; COMPUTE_PGM_RSRC2:TRAP_HANDLER: 0
; COMPUTE_PGM_RSRC2:TGID_X_EN: 1
; COMPUTE_PGM_RSRC2:TGID_Y_EN: 1
; COMPUTE_PGM_RSRC2:TGID_Z_EN: 1
; COMPUTE_PGM_RSRC2:TIDIG_COMP_CNT: 1
	.section	.text._ZN9rocsolver6v33100L9get_arrayI19rocblas_complex_numIfEiEEvPPT_S5_lT0_,"axG",@progbits,_ZN9rocsolver6v33100L9get_arrayI19rocblas_complex_numIfEiEEvPPT_S5_lT0_,comdat
	.globl	_ZN9rocsolver6v33100L9get_arrayI19rocblas_complex_numIfEiEEvPPT_S5_lT0_ ; -- Begin function _ZN9rocsolver6v33100L9get_arrayI19rocblas_complex_numIfEiEEvPPT_S5_lT0_
	.p2align	8
	.type	_ZN9rocsolver6v33100L9get_arrayI19rocblas_complex_numIfEiEEvPPT_S5_lT0_,@function
_ZN9rocsolver6v33100L9get_arrayI19rocblas_complex_numIfEiEEvPPT_S5_lT0_: ; @_ZN9rocsolver6v33100L9get_arrayI19rocblas_complex_numIfEiEEvPPT_S5_lT0_
; %bb.0:
	s_clause 0x1
	s_load_b32 s2, s[0:1], 0x2c
	s_load_b32 s3, s[0:1], 0x18
	s_bfe_u32 s4, ttmp6, 0x4000c
	s_and_b32 s5, ttmp6, 15
	s_add_co_i32 s4, s4, 1
	s_getreg_b32 s6, hwreg(HW_REG_IB_STS2, 6, 4)
	s_mul_i32 s4, ttmp9, s4
	s_delay_alu instid0(SALU_CYCLE_1) | instskip(SKIP_4) | instid1(SALU_CYCLE_1)
	s_add_co_i32 s5, s5, s4
	s_wait_kmcnt 0x0
	s_and_b32 s2, s2, 0xffff
	s_cmp_eq_u32 s6, 0
	s_cselect_b32 s4, ttmp9, s5
	v_mad_u32 v0, s4, s2, v0
	s_mov_b32 s2, exec_lo
	s_delay_alu instid0(VALU_DEP_1)
	v_cmpx_gt_i32_e64 s3, v0
	s_cbranch_execz .LBB8_2
; %bb.1:
	s_load_b64 s[2:3], s[0:1], 0x10
	v_ashrrev_i32_e32 v1, 31, v0
	s_wait_kmcnt 0x0
	s_delay_alu instid0(VALU_DEP_1) | instskip(SKIP_2) | instid1(VALU_DEP_1)
	v_mul_u64_e32 v[2:3], s[2:3], v[0:1]
	s_load_b128 s[0:3], s[0:1], 0x0
	s_wait_kmcnt 0x0
	v_lshl_add_u64 v[2:3], v[2:3], 3, s[2:3]
	global_store_b64 v0, v[2:3], s[0:1] scale_offset
.LBB8_2:
	s_endpgm
	.section	.rodata,"a",@progbits
	.p2align	6, 0x0
	.amdhsa_kernel _ZN9rocsolver6v33100L9get_arrayI19rocblas_complex_numIfEiEEvPPT_S5_lT0_
		.amdhsa_group_segment_fixed_size 0
		.amdhsa_private_segment_fixed_size 0
		.amdhsa_kernarg_size 288
		.amdhsa_user_sgpr_count 2
		.amdhsa_user_sgpr_dispatch_ptr 0
		.amdhsa_user_sgpr_queue_ptr 0
		.amdhsa_user_sgpr_kernarg_segment_ptr 1
		.amdhsa_user_sgpr_dispatch_id 0
		.amdhsa_user_sgpr_kernarg_preload_length 0
		.amdhsa_user_sgpr_kernarg_preload_offset 0
		.amdhsa_user_sgpr_private_segment_size 0
		.amdhsa_wavefront_size32 1
		.amdhsa_uses_dynamic_stack 0
		.amdhsa_enable_private_segment 0
		.amdhsa_system_sgpr_workgroup_id_x 1
		.amdhsa_system_sgpr_workgroup_id_y 0
		.amdhsa_system_sgpr_workgroup_id_z 0
		.amdhsa_system_sgpr_workgroup_info 0
		.amdhsa_system_vgpr_workitem_id 0
		.amdhsa_next_free_vgpr 4
		.amdhsa_next_free_sgpr 7
		.amdhsa_named_barrier_count 0
		.amdhsa_reserve_vcc 0
		.amdhsa_float_round_mode_32 0
		.amdhsa_float_round_mode_16_64 0
		.amdhsa_float_denorm_mode_32 3
		.amdhsa_float_denorm_mode_16_64 3
		.amdhsa_fp16_overflow 0
		.amdhsa_memory_ordered 1
		.amdhsa_forward_progress 1
		.amdhsa_inst_pref_size 2
		.amdhsa_round_robin_scheduling 0
		.amdhsa_exception_fp_ieee_invalid_op 0
		.amdhsa_exception_fp_denorm_src 0
		.amdhsa_exception_fp_ieee_div_zero 0
		.amdhsa_exception_fp_ieee_overflow 0
		.amdhsa_exception_fp_ieee_underflow 0
		.amdhsa_exception_fp_ieee_inexact 0
		.amdhsa_exception_int_div_zero 0
	.end_amdhsa_kernel
	.section	.text._ZN9rocsolver6v33100L9get_arrayI19rocblas_complex_numIfEiEEvPPT_S5_lT0_,"axG",@progbits,_ZN9rocsolver6v33100L9get_arrayI19rocblas_complex_numIfEiEEvPPT_S5_lT0_,comdat
.Lfunc_end8:
	.size	_ZN9rocsolver6v33100L9get_arrayI19rocblas_complex_numIfEiEEvPPT_S5_lT0_, .Lfunc_end8-_ZN9rocsolver6v33100L9get_arrayI19rocblas_complex_numIfEiEEvPPT_S5_lT0_
                                        ; -- End function
	.set _ZN9rocsolver6v33100L9get_arrayI19rocblas_complex_numIfEiEEvPPT_S5_lT0_.num_vgpr, 4
	.set _ZN9rocsolver6v33100L9get_arrayI19rocblas_complex_numIfEiEEvPPT_S5_lT0_.num_agpr, 0
	.set _ZN9rocsolver6v33100L9get_arrayI19rocblas_complex_numIfEiEEvPPT_S5_lT0_.numbered_sgpr, 7
	.set _ZN9rocsolver6v33100L9get_arrayI19rocblas_complex_numIfEiEEvPPT_S5_lT0_.num_named_barrier, 0
	.set _ZN9rocsolver6v33100L9get_arrayI19rocblas_complex_numIfEiEEvPPT_S5_lT0_.private_seg_size, 0
	.set _ZN9rocsolver6v33100L9get_arrayI19rocblas_complex_numIfEiEEvPPT_S5_lT0_.uses_vcc, 0
	.set _ZN9rocsolver6v33100L9get_arrayI19rocblas_complex_numIfEiEEvPPT_S5_lT0_.uses_flat_scratch, 0
	.set _ZN9rocsolver6v33100L9get_arrayI19rocblas_complex_numIfEiEEvPPT_S5_lT0_.has_dyn_sized_stack, 0
	.set _ZN9rocsolver6v33100L9get_arrayI19rocblas_complex_numIfEiEEvPPT_S5_lT0_.has_recursion, 0
	.set _ZN9rocsolver6v33100L9get_arrayI19rocblas_complex_numIfEiEEvPPT_S5_lT0_.has_indirect_call, 0
	.section	.AMDGPU.csdata,"",@progbits
; Kernel info:
; codeLenInByte = 160
; TotalNumSgprs: 7
; NumVgprs: 4
; ScratchSize: 0
; MemoryBound: 0
; FloatMode: 240
; IeeeMode: 1
; LDSByteSize: 0 bytes/workgroup (compile time only)
; SGPRBlocks: 0
; VGPRBlocks: 0
; NumSGPRsForWavesPerEU: 7
; NumVGPRsForWavesPerEU: 4
; NamedBarCnt: 0
; Occupancy: 16
; WaveLimiterHint : 0
; COMPUTE_PGM_RSRC2:SCRATCH_EN: 0
; COMPUTE_PGM_RSRC2:USER_SGPR: 2
; COMPUTE_PGM_RSRC2:TRAP_HANDLER: 0
; COMPUTE_PGM_RSRC2:TGID_X_EN: 1
; COMPUTE_PGM_RSRC2:TGID_Y_EN: 0
; COMPUTE_PGM_RSRC2:TGID_Z_EN: 0
; COMPUTE_PGM_RSRC2:TIDIG_COMP_CNT: 0
	.section	.text._ZN9rocsolver6v33100L16mfma_gemm_kernelI19rocblas_complex_numIfEiPKS3_PS3_PKS6_S8_EEv18rocblas_operation_S9_T0_SA_SA_T1_T2_lSA_SA_lT3_lSA_SA_lSB_T4_lSA_SA_l,"axG",@progbits,_ZN9rocsolver6v33100L16mfma_gemm_kernelI19rocblas_complex_numIfEiPKS3_PS3_PKS6_S8_EEv18rocblas_operation_S9_T0_SA_SA_T1_T2_lSA_SA_lT3_lSA_SA_lSB_T4_lSA_SA_l,comdat
	.globl	_ZN9rocsolver6v33100L16mfma_gemm_kernelI19rocblas_complex_numIfEiPKS3_PS3_PKS6_S8_EEv18rocblas_operation_S9_T0_SA_SA_T1_T2_lSA_SA_lT3_lSA_SA_lSB_T4_lSA_SA_l ; -- Begin function _ZN9rocsolver6v33100L16mfma_gemm_kernelI19rocblas_complex_numIfEiPKS3_PS3_PKS6_S8_EEv18rocblas_operation_S9_T0_SA_SA_T1_T2_lSA_SA_lT3_lSA_SA_lSB_T4_lSA_SA_l
	.p2align	8
	.type	_ZN9rocsolver6v33100L16mfma_gemm_kernelI19rocblas_complex_numIfEiPKS3_PS3_PKS6_S8_EEv18rocblas_operation_S9_T0_SA_SA_T1_T2_lSA_SA_lT3_lSA_SA_lSB_T4_lSA_SA_l,@function
_ZN9rocsolver6v33100L16mfma_gemm_kernelI19rocblas_complex_numIfEiPKS3_PS3_PKS6_S8_EEv18rocblas_operation_S9_T0_SA_SA_T1_T2_lSA_SA_lT3_lSA_SA_lSB_T4_lSA_SA_l: ; @_ZN9rocsolver6v33100L16mfma_gemm_kernelI19rocblas_complex_numIfEiPKS3_PS3_PKS6_S8_EEv18rocblas_operation_S9_T0_SA_SA_T1_T2_lSA_SA_lT3_lSA_SA_lSB_T4_lSA_SA_l
; %bb.0:
	s_endpgm
	.section	.rodata,"a",@progbits
	.p2align	6, 0x0
	.amdhsa_kernel _ZN9rocsolver6v33100L16mfma_gemm_kernelI19rocblas_complex_numIfEiPKS3_PS3_PKS6_S8_EEv18rocblas_operation_S9_T0_SA_SA_T1_T2_lSA_SA_lT3_lSA_SA_lSB_T4_lSA_SA_l
		.amdhsa_group_segment_fixed_size 0
		.amdhsa_private_segment_fixed_size 0
		.amdhsa_kernarg_size 136
		.amdhsa_user_sgpr_count 2
		.amdhsa_user_sgpr_dispatch_ptr 0
		.amdhsa_user_sgpr_queue_ptr 0
		.amdhsa_user_sgpr_kernarg_segment_ptr 1
		.amdhsa_user_sgpr_dispatch_id 0
		.amdhsa_user_sgpr_kernarg_preload_length 0
		.amdhsa_user_sgpr_kernarg_preload_offset 0
		.amdhsa_user_sgpr_private_segment_size 0
		.amdhsa_wavefront_size32 1
		.amdhsa_uses_dynamic_stack 0
		.amdhsa_enable_private_segment 0
		.amdhsa_system_sgpr_workgroup_id_x 1
		.amdhsa_system_sgpr_workgroup_id_y 0
		.amdhsa_system_sgpr_workgroup_id_z 0
		.amdhsa_system_sgpr_workgroup_info 0
		.amdhsa_system_vgpr_workitem_id 0
		.amdhsa_next_free_vgpr 1
		.amdhsa_next_free_sgpr 1
		.amdhsa_named_barrier_count 0
		.amdhsa_reserve_vcc 0
		.amdhsa_float_round_mode_32 0
		.amdhsa_float_round_mode_16_64 0
		.amdhsa_float_denorm_mode_32 3
		.amdhsa_float_denorm_mode_16_64 3
		.amdhsa_fp16_overflow 0
		.amdhsa_memory_ordered 1
		.amdhsa_forward_progress 1
		.amdhsa_inst_pref_size 1
		.amdhsa_round_robin_scheduling 0
		.amdhsa_exception_fp_ieee_invalid_op 0
		.amdhsa_exception_fp_denorm_src 0
		.amdhsa_exception_fp_ieee_div_zero 0
		.amdhsa_exception_fp_ieee_overflow 0
		.amdhsa_exception_fp_ieee_underflow 0
		.amdhsa_exception_fp_ieee_inexact 0
		.amdhsa_exception_int_div_zero 0
	.end_amdhsa_kernel
	.section	.text._ZN9rocsolver6v33100L16mfma_gemm_kernelI19rocblas_complex_numIfEiPKS3_PS3_PKS6_S8_EEv18rocblas_operation_S9_T0_SA_SA_T1_T2_lSA_SA_lT3_lSA_SA_lSB_T4_lSA_SA_l,"axG",@progbits,_ZN9rocsolver6v33100L16mfma_gemm_kernelI19rocblas_complex_numIfEiPKS3_PS3_PKS6_S8_EEv18rocblas_operation_S9_T0_SA_SA_T1_T2_lSA_SA_lT3_lSA_SA_lSB_T4_lSA_SA_l,comdat
.Lfunc_end9:
	.size	_ZN9rocsolver6v33100L16mfma_gemm_kernelI19rocblas_complex_numIfEiPKS3_PS3_PKS6_S8_EEv18rocblas_operation_S9_T0_SA_SA_T1_T2_lSA_SA_lT3_lSA_SA_lSB_T4_lSA_SA_l, .Lfunc_end9-_ZN9rocsolver6v33100L16mfma_gemm_kernelI19rocblas_complex_numIfEiPKS3_PS3_PKS6_S8_EEv18rocblas_operation_S9_T0_SA_SA_T1_T2_lSA_SA_lT3_lSA_SA_lSB_T4_lSA_SA_l
                                        ; -- End function
	.set _ZN9rocsolver6v33100L16mfma_gemm_kernelI19rocblas_complex_numIfEiPKS3_PS3_PKS6_S8_EEv18rocblas_operation_S9_T0_SA_SA_T1_T2_lSA_SA_lT3_lSA_SA_lSB_T4_lSA_SA_l.num_vgpr, 0
	.set _ZN9rocsolver6v33100L16mfma_gemm_kernelI19rocblas_complex_numIfEiPKS3_PS3_PKS6_S8_EEv18rocblas_operation_S9_T0_SA_SA_T1_T2_lSA_SA_lT3_lSA_SA_lSB_T4_lSA_SA_l.num_agpr, 0
	.set _ZN9rocsolver6v33100L16mfma_gemm_kernelI19rocblas_complex_numIfEiPKS3_PS3_PKS6_S8_EEv18rocblas_operation_S9_T0_SA_SA_T1_T2_lSA_SA_lT3_lSA_SA_lSB_T4_lSA_SA_l.numbered_sgpr, 0
	.set _ZN9rocsolver6v33100L16mfma_gemm_kernelI19rocblas_complex_numIfEiPKS3_PS3_PKS6_S8_EEv18rocblas_operation_S9_T0_SA_SA_T1_T2_lSA_SA_lT3_lSA_SA_lSB_T4_lSA_SA_l.num_named_barrier, 0
	.set _ZN9rocsolver6v33100L16mfma_gemm_kernelI19rocblas_complex_numIfEiPKS3_PS3_PKS6_S8_EEv18rocblas_operation_S9_T0_SA_SA_T1_T2_lSA_SA_lT3_lSA_SA_lSB_T4_lSA_SA_l.private_seg_size, 0
	.set _ZN9rocsolver6v33100L16mfma_gemm_kernelI19rocblas_complex_numIfEiPKS3_PS3_PKS6_S8_EEv18rocblas_operation_S9_T0_SA_SA_T1_T2_lSA_SA_lT3_lSA_SA_lSB_T4_lSA_SA_l.uses_vcc, 0
	.set _ZN9rocsolver6v33100L16mfma_gemm_kernelI19rocblas_complex_numIfEiPKS3_PS3_PKS6_S8_EEv18rocblas_operation_S9_T0_SA_SA_T1_T2_lSA_SA_lT3_lSA_SA_lSB_T4_lSA_SA_l.uses_flat_scratch, 0
	.set _ZN9rocsolver6v33100L16mfma_gemm_kernelI19rocblas_complex_numIfEiPKS3_PS3_PKS6_S8_EEv18rocblas_operation_S9_T0_SA_SA_T1_T2_lSA_SA_lT3_lSA_SA_lSB_T4_lSA_SA_l.has_dyn_sized_stack, 0
	.set _ZN9rocsolver6v33100L16mfma_gemm_kernelI19rocblas_complex_numIfEiPKS3_PS3_PKS6_S8_EEv18rocblas_operation_S9_T0_SA_SA_T1_T2_lSA_SA_lT3_lSA_SA_lSB_T4_lSA_SA_l.has_recursion, 0
	.set _ZN9rocsolver6v33100L16mfma_gemm_kernelI19rocblas_complex_numIfEiPKS3_PS3_PKS6_S8_EEv18rocblas_operation_S9_T0_SA_SA_T1_T2_lSA_SA_lT3_lSA_SA_lSB_T4_lSA_SA_l.has_indirect_call, 0
	.section	.AMDGPU.csdata,"",@progbits
; Kernel info:
; codeLenInByte = 4
; TotalNumSgprs: 0
; NumVgprs: 0
; ScratchSize: 0
; MemoryBound: 0
; FloatMode: 240
; IeeeMode: 1
; LDSByteSize: 0 bytes/workgroup (compile time only)
; SGPRBlocks: 0
; VGPRBlocks: 0
; NumSGPRsForWavesPerEU: 1
; NumVGPRsForWavesPerEU: 1
; NamedBarCnt: 0
; Occupancy: 16
; WaveLimiterHint : 0
; COMPUTE_PGM_RSRC2:SCRATCH_EN: 0
; COMPUTE_PGM_RSRC2:USER_SGPR: 2
; COMPUTE_PGM_RSRC2:TRAP_HANDLER: 0
; COMPUTE_PGM_RSRC2:TGID_X_EN: 1
; COMPUTE_PGM_RSRC2:TGID_Y_EN: 0
; COMPUTE_PGM_RSRC2:TGID_Z_EN: 0
; COMPUTE_PGM_RSRC2:TIDIG_COMP_CNT: 0
	.section	.text._ZN9rocsolver6v33100L16mfma_gemm_kernelI19rocblas_complex_numIfEiS3_PS3_PKS4_S6_EEv18rocblas_operation_S7_T0_S8_S8_T1_T2_lS8_S8_lT3_lS8_S8_lS9_T4_lS8_S8_l,"axG",@progbits,_ZN9rocsolver6v33100L16mfma_gemm_kernelI19rocblas_complex_numIfEiS3_PS3_PKS4_S6_EEv18rocblas_operation_S7_T0_S8_S8_T1_T2_lS8_S8_lT3_lS8_S8_lS9_T4_lS8_S8_l,comdat
	.globl	_ZN9rocsolver6v33100L16mfma_gemm_kernelI19rocblas_complex_numIfEiS3_PS3_PKS4_S6_EEv18rocblas_operation_S7_T0_S8_S8_T1_T2_lS8_S8_lT3_lS8_S8_lS9_T4_lS8_S8_l ; -- Begin function _ZN9rocsolver6v33100L16mfma_gemm_kernelI19rocblas_complex_numIfEiS3_PS3_PKS4_S6_EEv18rocblas_operation_S7_T0_S8_S8_T1_T2_lS8_S8_lT3_lS8_S8_lS9_T4_lS8_S8_l
	.p2align	8
	.type	_ZN9rocsolver6v33100L16mfma_gemm_kernelI19rocblas_complex_numIfEiS3_PS3_PKS4_S6_EEv18rocblas_operation_S7_T0_S8_S8_T1_T2_lS8_S8_lT3_lS8_S8_lS9_T4_lS8_S8_l,@function
_ZN9rocsolver6v33100L16mfma_gemm_kernelI19rocblas_complex_numIfEiS3_PS3_PKS4_S6_EEv18rocblas_operation_S7_T0_S8_S8_T1_T2_lS8_S8_lT3_lS8_S8_lS9_T4_lS8_S8_l: ; @_ZN9rocsolver6v33100L16mfma_gemm_kernelI19rocblas_complex_numIfEiS3_PS3_PKS4_S6_EEv18rocblas_operation_S7_T0_S8_S8_T1_T2_lS8_S8_lT3_lS8_S8_lS9_T4_lS8_S8_l
; %bb.0:
	s_endpgm
	.section	.rodata,"a",@progbits
	.p2align	6, 0x0
	.amdhsa_kernel _ZN9rocsolver6v33100L16mfma_gemm_kernelI19rocblas_complex_numIfEiS3_PS3_PKS4_S6_EEv18rocblas_operation_S7_T0_S8_S8_T1_T2_lS8_S8_lT3_lS8_S8_lS9_T4_lS8_S8_l
		.amdhsa_group_segment_fixed_size 0
		.amdhsa_private_segment_fixed_size 0
		.amdhsa_kernarg_size 136
		.amdhsa_user_sgpr_count 2
		.amdhsa_user_sgpr_dispatch_ptr 0
		.amdhsa_user_sgpr_queue_ptr 0
		.amdhsa_user_sgpr_kernarg_segment_ptr 1
		.amdhsa_user_sgpr_dispatch_id 0
		.amdhsa_user_sgpr_kernarg_preload_length 0
		.amdhsa_user_sgpr_kernarg_preload_offset 0
		.amdhsa_user_sgpr_private_segment_size 0
		.amdhsa_wavefront_size32 1
		.amdhsa_uses_dynamic_stack 0
		.amdhsa_enable_private_segment 0
		.amdhsa_system_sgpr_workgroup_id_x 1
		.amdhsa_system_sgpr_workgroup_id_y 0
		.amdhsa_system_sgpr_workgroup_id_z 0
		.amdhsa_system_sgpr_workgroup_info 0
		.amdhsa_system_vgpr_workitem_id 0
		.amdhsa_next_free_vgpr 1
		.amdhsa_next_free_sgpr 1
		.amdhsa_named_barrier_count 0
		.amdhsa_reserve_vcc 0
		.amdhsa_float_round_mode_32 0
		.amdhsa_float_round_mode_16_64 0
		.amdhsa_float_denorm_mode_32 3
		.amdhsa_float_denorm_mode_16_64 3
		.amdhsa_fp16_overflow 0
		.amdhsa_memory_ordered 1
		.amdhsa_forward_progress 1
		.amdhsa_inst_pref_size 1
		.amdhsa_round_robin_scheduling 0
		.amdhsa_exception_fp_ieee_invalid_op 0
		.amdhsa_exception_fp_denorm_src 0
		.amdhsa_exception_fp_ieee_div_zero 0
		.amdhsa_exception_fp_ieee_overflow 0
		.amdhsa_exception_fp_ieee_underflow 0
		.amdhsa_exception_fp_ieee_inexact 0
		.amdhsa_exception_int_div_zero 0
	.end_amdhsa_kernel
	.section	.text._ZN9rocsolver6v33100L16mfma_gemm_kernelI19rocblas_complex_numIfEiS3_PS3_PKS4_S6_EEv18rocblas_operation_S7_T0_S8_S8_T1_T2_lS8_S8_lT3_lS8_S8_lS9_T4_lS8_S8_l,"axG",@progbits,_ZN9rocsolver6v33100L16mfma_gemm_kernelI19rocblas_complex_numIfEiS3_PS3_PKS4_S6_EEv18rocblas_operation_S7_T0_S8_S8_T1_T2_lS8_S8_lT3_lS8_S8_lS9_T4_lS8_S8_l,comdat
.Lfunc_end10:
	.size	_ZN9rocsolver6v33100L16mfma_gemm_kernelI19rocblas_complex_numIfEiS3_PS3_PKS4_S6_EEv18rocblas_operation_S7_T0_S8_S8_T1_T2_lS8_S8_lT3_lS8_S8_lS9_T4_lS8_S8_l, .Lfunc_end10-_ZN9rocsolver6v33100L16mfma_gemm_kernelI19rocblas_complex_numIfEiS3_PS3_PKS4_S6_EEv18rocblas_operation_S7_T0_S8_S8_T1_T2_lS8_S8_lT3_lS8_S8_lS9_T4_lS8_S8_l
                                        ; -- End function
	.set _ZN9rocsolver6v33100L16mfma_gemm_kernelI19rocblas_complex_numIfEiS3_PS3_PKS4_S6_EEv18rocblas_operation_S7_T0_S8_S8_T1_T2_lS8_S8_lT3_lS8_S8_lS9_T4_lS8_S8_l.num_vgpr, 0
	.set _ZN9rocsolver6v33100L16mfma_gemm_kernelI19rocblas_complex_numIfEiS3_PS3_PKS4_S6_EEv18rocblas_operation_S7_T0_S8_S8_T1_T2_lS8_S8_lT3_lS8_S8_lS9_T4_lS8_S8_l.num_agpr, 0
	.set _ZN9rocsolver6v33100L16mfma_gemm_kernelI19rocblas_complex_numIfEiS3_PS3_PKS4_S6_EEv18rocblas_operation_S7_T0_S8_S8_T1_T2_lS8_S8_lT3_lS8_S8_lS9_T4_lS8_S8_l.numbered_sgpr, 0
	.set _ZN9rocsolver6v33100L16mfma_gemm_kernelI19rocblas_complex_numIfEiS3_PS3_PKS4_S6_EEv18rocblas_operation_S7_T0_S8_S8_T1_T2_lS8_S8_lT3_lS8_S8_lS9_T4_lS8_S8_l.num_named_barrier, 0
	.set _ZN9rocsolver6v33100L16mfma_gemm_kernelI19rocblas_complex_numIfEiS3_PS3_PKS4_S6_EEv18rocblas_operation_S7_T0_S8_S8_T1_T2_lS8_S8_lT3_lS8_S8_lS9_T4_lS8_S8_l.private_seg_size, 0
	.set _ZN9rocsolver6v33100L16mfma_gemm_kernelI19rocblas_complex_numIfEiS3_PS3_PKS4_S6_EEv18rocblas_operation_S7_T0_S8_S8_T1_T2_lS8_S8_lT3_lS8_S8_lS9_T4_lS8_S8_l.uses_vcc, 0
	.set _ZN9rocsolver6v33100L16mfma_gemm_kernelI19rocblas_complex_numIfEiS3_PS3_PKS4_S6_EEv18rocblas_operation_S7_T0_S8_S8_T1_T2_lS8_S8_lT3_lS8_S8_lS9_T4_lS8_S8_l.uses_flat_scratch, 0
	.set _ZN9rocsolver6v33100L16mfma_gemm_kernelI19rocblas_complex_numIfEiS3_PS3_PKS4_S6_EEv18rocblas_operation_S7_T0_S8_S8_T1_T2_lS8_S8_lT3_lS8_S8_lS9_T4_lS8_S8_l.has_dyn_sized_stack, 0
	.set _ZN9rocsolver6v33100L16mfma_gemm_kernelI19rocblas_complex_numIfEiS3_PS3_PKS4_S6_EEv18rocblas_operation_S7_T0_S8_S8_T1_T2_lS8_S8_lT3_lS8_S8_lS9_T4_lS8_S8_l.has_recursion, 0
	.set _ZN9rocsolver6v33100L16mfma_gemm_kernelI19rocblas_complex_numIfEiS3_PS3_PKS4_S6_EEv18rocblas_operation_S7_T0_S8_S8_T1_T2_lS8_S8_lT3_lS8_S8_lS9_T4_lS8_S8_l.has_indirect_call, 0
	.section	.AMDGPU.csdata,"",@progbits
; Kernel info:
; codeLenInByte = 4
; TotalNumSgprs: 0
; NumVgprs: 0
; ScratchSize: 0
; MemoryBound: 0
; FloatMode: 240
; IeeeMode: 1
; LDSByteSize: 0 bytes/workgroup (compile time only)
; SGPRBlocks: 0
; VGPRBlocks: 0
; NumSGPRsForWavesPerEU: 1
; NumVGPRsForWavesPerEU: 1
; NamedBarCnt: 0
; Occupancy: 16
; WaveLimiterHint : 0
; COMPUTE_PGM_RSRC2:SCRATCH_EN: 0
; COMPUTE_PGM_RSRC2:USER_SGPR: 2
; COMPUTE_PGM_RSRC2:TRAP_HANDLER: 0
; COMPUTE_PGM_RSRC2:TGID_X_EN: 1
; COMPUTE_PGM_RSRC2:TGID_Y_EN: 0
; COMPUTE_PGM_RSRC2:TGID_Z_EN: 0
; COMPUTE_PGM_RSRC2:TIDIG_COMP_CNT: 0
	.section	.text._ZN9rocsolver6v33100L11gemm_kernelI19rocblas_complex_numIfEiPKS3_PS3_PKS6_S8_EEvT0_S9_S9_T1_bT2_lS9_S9_lbT3_lS9_S9_lSA_T4_lS9_S9_l,"axG",@progbits,_ZN9rocsolver6v33100L11gemm_kernelI19rocblas_complex_numIfEiPKS3_PS3_PKS6_S8_EEvT0_S9_S9_T1_bT2_lS9_S9_lbT3_lS9_S9_lSA_T4_lS9_S9_l,comdat
	.globl	_ZN9rocsolver6v33100L11gemm_kernelI19rocblas_complex_numIfEiPKS3_PS3_PKS6_S8_EEvT0_S9_S9_T1_bT2_lS9_S9_lbT3_lS9_S9_lSA_T4_lS9_S9_l ; -- Begin function _ZN9rocsolver6v33100L11gemm_kernelI19rocblas_complex_numIfEiPKS3_PS3_PKS6_S8_EEvT0_S9_S9_T1_bT2_lS9_S9_lbT3_lS9_S9_lSA_T4_lS9_S9_l
	.p2align	8
	.type	_ZN9rocsolver6v33100L11gemm_kernelI19rocblas_complex_numIfEiPKS3_PS3_PKS6_S8_EEvT0_S9_S9_T1_bT2_lS9_S9_lbT3_lS9_S9_lSA_T4_lS9_S9_l,@function
_ZN9rocsolver6v33100L11gemm_kernelI19rocblas_complex_numIfEiPKS3_PS3_PKS6_S8_EEvT0_S9_S9_T1_bT2_lS9_S9_lbT3_lS9_S9_lSA_T4_lS9_S9_l: ; @_ZN9rocsolver6v33100L11gemm_kernelI19rocblas_complex_numIfEiPKS3_PS3_PKS6_S8_EEvT0_S9_S9_T1_bT2_lS9_S9_lbT3_lS9_S9_lSA_T4_lS9_S9_l
; %bb.0:
	s_clause 0x1
	s_load_b32 s2, s[0:1], 0x9c
	s_load_b96 s[16:18], s[0:1], 0x0
	s_bfe_u32 s5, ttmp6, 0x4000c
	s_bfe_u32 s7, ttmp6, 0x40010
	s_and_b32 s6, ttmp7, 0xffff
	s_add_co_i32 s5, s5, 1
	s_add_co_i32 s7, s7, 1
	s_and_b32 s3, ttmp6, 15
	s_bfe_u32 s8, ttmp6, 0x40004
	s_mul_i32 s5, ttmp9, s5
	s_mul_i32 s7, s6, s7
	s_getreg_b32 s4, hwreg(HW_REG_IB_STS2, 6, 4)
	v_bfe_u32 v2, v0, 10, 10
	v_and_b32_e32 v0, 0x3ff, v0
	s_add_co_i32 s3, s3, s5
	s_add_co_i32 s8, s8, s7
	s_mov_b32 s21, 0
	s_wait_kmcnt 0x0
	s_and_b32 s5, s2, 0xffff
	s_lshr_b32 s2, s2, 16
	s_cmp_eq_u32 s4, 0
	s_cselect_b32 s3, ttmp9, s3
	s_cselect_b32 s6, s6, s8
	v_mad_u32 v1, s3, s5, v0
	v_mad_u32 v3, s6, s2, v2
	s_delay_alu instid0(VALU_DEP_2) | instskip(NEXT) | instid1(VALU_DEP_2)
	v_cmp_gt_i32_e32 vcc_lo, s16, v1
	v_cmp_gt_i32_e64 s2, s17, v3
	s_and_b32 s2, vcc_lo, s2
	s_delay_alu instid0(SALU_CYCLE_1)
	s_and_saveexec_b32 s3, s2
	s_cbranch_execz .LBB11_10
; %bb.1:
	s_clause 0x2
	s_load_b64 s[6:7], s[0:1], 0x10
	s_load_b128 s[12:15], s[0:1], 0x68
	s_load_b64 s[16:17], s[0:1], 0x78
	s_bfe_u32 s5, ttmp6, 0x40014
	s_wait_kmcnt 0x0
	s_load_b64 s[22:23], s[6:7], 0x0
	s_load_b64 s[2:3], s[12:13], 0x0
	s_wait_xcnt 0x0
	s_lshr_b32 s6, ttmp7, 16
	s_add_co_i32 s5, s5, 1
	s_bfe_u32 s7, ttmp6, 0x40008
	s_mul_i32 s5, s6, s5
	s_delay_alu instid0(SALU_CYCLE_1)
	s_add_co_i32 s7, s7, s5
	s_cmp_eq_u32 s4, 0
	s_cselect_b32 s20, s6, s7
	s_cmp_lt_i32 s18, 1
	s_cbranch_scc1 .LBB11_8
; %bb.2:
	s_clause 0x4
	s_load_b128 s[24:27], s[0:1], 0x48
	s_load_b32 s19, s[0:1], 0x18
	s_load_b32 s30, s[0:1], 0x40
	s_load_b256 s[4:11], s[0:1], 0x20
	s_load_b64 s[12:13], s[0:1], 0x58
	v_dual_mov_b32 v0, 0 :: v_dual_mov_b32 v2, 0
	s_wait_kmcnt 0x0
	s_load_b64 s[28:29], s[24:25], s20 offset:0x0 scale_offset
	s_bitcmp1_b32 s19, 0
	s_cselect_b32 s19, -1, 0
	v_mul_lo_u32 v4, v1, s8
	v_mul_lo_u32 v10, v3, s13
	s_xor_b32 s19, s19, -1
	s_bitcmp1_b32 s30, 0
	s_mul_u64 s[10:11], s[10:11], s[20:21]
	s_wait_xcnt 0x0
	s_cselect_b32 s24, -1, 0
	s_lshl_b64 s[10:11], s[10:11], 3
	s_lshl_b64 s[6:7], s[6:7], 3
	s_add_nc_u64 s[4:5], s[4:5], s[10:11]
	s_lshl_b64 s[10:11], s[26:27], 3
	s_add_nc_u64 s[4:5], s[4:5], s[6:7]
	s_wait_kmcnt 0x0
	s_add_nc_u64 s[6:7], s[28:29], s[10:11]
	s_branch .LBB11_4
.LBB11_3:                               ;   in Loop: Header=BB11_4 Depth=1
	flat_load_b64 v[8:9], v10, s[6:7] scale_offset
	s_add_co_i32 s18, s18, -1
	v_add_nc_u32_e32 v4, s9, v4
	s_cmp_eq_u32 s18, 0
	s_wait_loadcnt_dscnt 0x0
	v_dual_cndmask_b32 v5, v9, -v9, s24 :: v_dual_mul_f32 v9, v7, v8
	s_delay_alu instid0(VALU_DEP_1) | instskip(SKIP_1) | instid1(VALU_DEP_2)
	v_dual_mul_f32 v7, v7, v5 :: v_dual_fmac_f32 v9, v5, v6
	v_add_nc_u32_e32 v10, s12, v10
	v_fma_f32 v5, v8, v6, -v7
	s_delay_alu instid0(VALU_DEP_3) | instskip(NEXT) | instid1(VALU_DEP_2)
	v_add_f32_e32 v0, v0, v9
	v_add_f32_e32 v2, v2, v5
	s_cbranch_scc1 .LBB11_9
.LBB11_4:                               ; =>This Inner Loop Header: Depth=1
	v_ashrrev_i32_e32 v5, 31, v4
	s_and_b32 vcc_lo, exec_lo, s19
	s_mov_b32 s8, -1
                                        ; implicit-def: $vgpr7
	s_delay_alu instid0(VALU_DEP_1)
	v_lshl_add_u64 v[8:9], v[4:5], 3, s[4:5]
	s_cbranch_vccz .LBB11_6
; %bb.5:                                ;   in Loop: Header=BB11_4 Depth=1
	global_load_b64 v[6:7], v[8:9], off
	s_mov_b32 s8, 0
.LBB11_6:                               ;   in Loop: Header=BB11_4 Depth=1
	s_delay_alu instid0(SALU_CYCLE_1)
	s_and_not1_b32 vcc_lo, exec_lo, s8
	s_cbranch_vccnz .LBB11_3
; %bb.7:                                ;   in Loop: Header=BB11_4 Depth=1
	s_wait_loadcnt 0x0
	global_load_b64 v[6:7], v[8:9], off
	s_wait_loadcnt 0x0
	v_xor_b32_e32 v7, 0x80000000, v7
	s_branch .LBB11_3
.LBB11_8:
	v_dual_mov_b32 v0, 0 :: v_dual_mov_b32 v2, 0
.LBB11_9:
	s_load_b64 s[4:5], s[14:15], s20 offset:0x0 scale_offset
	s_nop 0
	s_load_b64 s[0:1], s[0:1], 0x80
	s_wait_kmcnt 0x0
	v_mov_b64_e32 v[6:7], s[22:23]
	v_mov_b64_e32 v[8:9], s[2:3]
	v_mul_lo_u32 v1, v1, s0
	s_delay_alu instid0(VALU_DEP_1) | instskip(SKIP_1) | instid1(VALU_DEP_4)
	v_mad_u32 v16, v3, s1, v1
	s_lshl_b64 s[0:1], s[16:17], 3
	v_pk_mul_f32 v[0:1], v[6:7], v[0:1] op_sel:[1,0] op_sel_hi:[0,0]
	s_add_nc_u64 s[0:1], s[4:5], s[0:1]
	s_delay_alu instid0(VALU_DEP_1) | instskip(SKIP_4) | instid1(VALU_DEP_1)
	v_pk_fma_f32 v[12:13], v[6:7], v[2:3], v[0:1] op_sel_hi:[1,0,1]
	v_pk_fma_f32 v[0:1], v[6:7], v[2:3], v[0:1] neg_lo:[0,0,1] neg_hi:[0,0,1]
	flat_load_b64 v[4:5], v16, s[0:1] scale_offset
	s_wait_loadcnt_dscnt 0x0
	v_pk_mul_f32 v[10:11], v[8:9], v[4:5] op_sel:[1,1] op_sel_hi:[0,1]
	v_pk_fma_f32 v[14:15], v[8:9], v[4:5], v[10:11] op_sel_hi:[1,0,1]
	v_pk_fma_f32 v[2:3], v[8:9], v[4:5], v[10:11] neg_lo:[0,0,1] neg_hi:[0,0,1]
	s_delay_alu instid0(VALU_DEP_2) | instskip(NEXT) | instid1(VALU_DEP_1)
	v_dual_mov_b32 v1, v13 :: v_dual_mov_b32 v3, v15
	v_pk_add_f32 v[0:1], v[0:1], v[2:3]
	flat_store_b64 v16, v[0:1], s[0:1] scale_offset
.LBB11_10:
	s_endpgm
	.section	.rodata,"a",@progbits
	.p2align	6, 0x0
	.amdhsa_kernel _ZN9rocsolver6v33100L11gemm_kernelI19rocblas_complex_numIfEiPKS3_PS3_PKS6_S8_EEvT0_S9_S9_T1_bT2_lS9_S9_lbT3_lS9_S9_lSA_T4_lS9_S9_l
		.amdhsa_group_segment_fixed_size 0
		.amdhsa_private_segment_fixed_size 0
		.amdhsa_kernarg_size 400
		.amdhsa_user_sgpr_count 2
		.amdhsa_user_sgpr_dispatch_ptr 0
		.amdhsa_user_sgpr_queue_ptr 0
		.amdhsa_user_sgpr_kernarg_segment_ptr 1
		.amdhsa_user_sgpr_dispatch_id 0
		.amdhsa_user_sgpr_kernarg_preload_length 0
		.amdhsa_user_sgpr_kernarg_preload_offset 0
		.amdhsa_user_sgpr_private_segment_size 0
		.amdhsa_wavefront_size32 1
		.amdhsa_uses_dynamic_stack 0
		.amdhsa_enable_private_segment 0
		.amdhsa_system_sgpr_workgroup_id_x 1
		.amdhsa_system_sgpr_workgroup_id_y 1
		.amdhsa_system_sgpr_workgroup_id_z 1
		.amdhsa_system_sgpr_workgroup_info 0
		.amdhsa_system_vgpr_workitem_id 1
		.amdhsa_next_free_vgpr 17
		.amdhsa_next_free_sgpr 31
		.amdhsa_named_barrier_count 0
		.amdhsa_reserve_vcc 1
		.amdhsa_float_round_mode_32 0
		.amdhsa_float_round_mode_16_64 0
		.amdhsa_float_denorm_mode_32 3
		.amdhsa_float_denorm_mode_16_64 3
		.amdhsa_fp16_overflow 0
		.amdhsa_memory_ordered 1
		.amdhsa_forward_progress 1
		.amdhsa_inst_pref_size 7
		.amdhsa_round_robin_scheduling 0
		.amdhsa_exception_fp_ieee_invalid_op 0
		.amdhsa_exception_fp_denorm_src 0
		.amdhsa_exception_fp_ieee_div_zero 0
		.amdhsa_exception_fp_ieee_overflow 0
		.amdhsa_exception_fp_ieee_underflow 0
		.amdhsa_exception_fp_ieee_inexact 0
		.amdhsa_exception_int_div_zero 0
	.end_amdhsa_kernel
	.section	.text._ZN9rocsolver6v33100L11gemm_kernelI19rocblas_complex_numIfEiPKS3_PS3_PKS6_S8_EEvT0_S9_S9_T1_bT2_lS9_S9_lbT3_lS9_S9_lSA_T4_lS9_S9_l,"axG",@progbits,_ZN9rocsolver6v33100L11gemm_kernelI19rocblas_complex_numIfEiPKS3_PS3_PKS6_S8_EEvT0_S9_S9_T1_bT2_lS9_S9_lbT3_lS9_S9_lSA_T4_lS9_S9_l,comdat
.Lfunc_end11:
	.size	_ZN9rocsolver6v33100L11gemm_kernelI19rocblas_complex_numIfEiPKS3_PS3_PKS6_S8_EEvT0_S9_S9_T1_bT2_lS9_S9_lbT3_lS9_S9_lSA_T4_lS9_S9_l, .Lfunc_end11-_ZN9rocsolver6v33100L11gemm_kernelI19rocblas_complex_numIfEiPKS3_PS3_PKS6_S8_EEvT0_S9_S9_T1_bT2_lS9_S9_lbT3_lS9_S9_lSA_T4_lS9_S9_l
                                        ; -- End function
	.set _ZN9rocsolver6v33100L11gemm_kernelI19rocblas_complex_numIfEiPKS3_PS3_PKS6_S8_EEvT0_S9_S9_T1_bT2_lS9_S9_lbT3_lS9_S9_lSA_T4_lS9_S9_l.num_vgpr, 17
	.set _ZN9rocsolver6v33100L11gemm_kernelI19rocblas_complex_numIfEiPKS3_PS3_PKS6_S8_EEvT0_S9_S9_T1_bT2_lS9_S9_lbT3_lS9_S9_lSA_T4_lS9_S9_l.num_agpr, 0
	.set _ZN9rocsolver6v33100L11gemm_kernelI19rocblas_complex_numIfEiPKS3_PS3_PKS6_S8_EEvT0_S9_S9_T1_bT2_lS9_S9_lbT3_lS9_S9_lSA_T4_lS9_S9_l.numbered_sgpr, 31
	.set _ZN9rocsolver6v33100L11gemm_kernelI19rocblas_complex_numIfEiPKS3_PS3_PKS6_S8_EEvT0_S9_S9_T1_bT2_lS9_S9_lbT3_lS9_S9_lSA_T4_lS9_S9_l.num_named_barrier, 0
	.set _ZN9rocsolver6v33100L11gemm_kernelI19rocblas_complex_numIfEiPKS3_PS3_PKS6_S8_EEvT0_S9_S9_T1_bT2_lS9_S9_lbT3_lS9_S9_lSA_T4_lS9_S9_l.private_seg_size, 0
	.set _ZN9rocsolver6v33100L11gemm_kernelI19rocblas_complex_numIfEiPKS3_PS3_PKS6_S8_EEvT0_S9_S9_T1_bT2_lS9_S9_lbT3_lS9_S9_lSA_T4_lS9_S9_l.uses_vcc, 1
	.set _ZN9rocsolver6v33100L11gemm_kernelI19rocblas_complex_numIfEiPKS3_PS3_PKS6_S8_EEvT0_S9_S9_T1_bT2_lS9_S9_lbT3_lS9_S9_lSA_T4_lS9_S9_l.uses_flat_scratch, 0
	.set _ZN9rocsolver6v33100L11gemm_kernelI19rocblas_complex_numIfEiPKS3_PS3_PKS6_S8_EEvT0_S9_S9_T1_bT2_lS9_S9_lbT3_lS9_S9_lSA_T4_lS9_S9_l.has_dyn_sized_stack, 0
	.set _ZN9rocsolver6v33100L11gemm_kernelI19rocblas_complex_numIfEiPKS3_PS3_PKS6_S8_EEvT0_S9_S9_T1_bT2_lS9_S9_lbT3_lS9_S9_lSA_T4_lS9_S9_l.has_recursion, 0
	.set _ZN9rocsolver6v33100L11gemm_kernelI19rocblas_complex_numIfEiPKS3_PS3_PKS6_S8_EEvT0_S9_S9_T1_bT2_lS9_S9_lbT3_lS9_S9_lSA_T4_lS9_S9_l.has_indirect_call, 0
	.section	.AMDGPU.csdata,"",@progbits
; Kernel info:
; codeLenInByte = 780
; TotalNumSgprs: 33
; NumVgprs: 17
; ScratchSize: 0
; MemoryBound: 0
; FloatMode: 240
; IeeeMode: 1
; LDSByteSize: 0 bytes/workgroup (compile time only)
; SGPRBlocks: 0
; VGPRBlocks: 1
; NumSGPRsForWavesPerEU: 33
; NumVGPRsForWavesPerEU: 17
; NamedBarCnt: 0
; Occupancy: 16
; WaveLimiterHint : 1
; COMPUTE_PGM_RSRC2:SCRATCH_EN: 0
; COMPUTE_PGM_RSRC2:USER_SGPR: 2
; COMPUTE_PGM_RSRC2:TRAP_HANDLER: 0
; COMPUTE_PGM_RSRC2:TGID_X_EN: 1
; COMPUTE_PGM_RSRC2:TGID_Y_EN: 1
; COMPUTE_PGM_RSRC2:TGID_Z_EN: 1
; COMPUTE_PGM_RSRC2:TIDIG_COMP_CNT: 1
	.section	.text._ZN9rocsolver6v33100L11gemm_kernelI19rocblas_complex_numIfEiS3_PS3_PKS4_S6_EEvT0_S7_S7_T1_bT2_lS7_S7_lbT3_lS7_S7_lS8_T4_lS7_S7_l,"axG",@progbits,_ZN9rocsolver6v33100L11gemm_kernelI19rocblas_complex_numIfEiS3_PS3_PKS4_S6_EEvT0_S7_S7_T1_bT2_lS7_S7_lbT3_lS7_S7_lS8_T4_lS7_S7_l,comdat
	.globl	_ZN9rocsolver6v33100L11gemm_kernelI19rocblas_complex_numIfEiS3_PS3_PKS4_S6_EEvT0_S7_S7_T1_bT2_lS7_S7_lbT3_lS7_S7_lS8_T4_lS7_S7_l ; -- Begin function _ZN9rocsolver6v33100L11gemm_kernelI19rocblas_complex_numIfEiS3_PS3_PKS4_S6_EEvT0_S7_S7_T1_bT2_lS7_S7_lbT3_lS7_S7_lS8_T4_lS7_S7_l
	.p2align	8
	.type	_ZN9rocsolver6v33100L11gemm_kernelI19rocblas_complex_numIfEiS3_PS3_PKS4_S6_EEvT0_S7_S7_T1_bT2_lS7_S7_lbT3_lS7_S7_lS8_T4_lS7_S7_l,@function
_ZN9rocsolver6v33100L11gemm_kernelI19rocblas_complex_numIfEiS3_PS3_PKS4_S6_EEvT0_S7_S7_T1_bT2_lS7_S7_lbT3_lS7_S7_lS8_T4_lS7_S7_l: ; @_ZN9rocsolver6v33100L11gemm_kernelI19rocblas_complex_numIfEiS3_PS3_PKS4_S6_EEvT0_S7_S7_T1_bT2_lS7_S7_lbT3_lS7_S7_lS8_T4_lS7_S7_l
; %bb.0:
	s_clause 0x1
	s_load_b32 s2, s[0:1], 0x94
	s_load_b128 s[12:15], s[0:1], 0x0
	s_bfe_u32 s5, ttmp6, 0x4000c
	s_bfe_u32 s7, ttmp6, 0x40010
	s_and_b32 s6, ttmp7, 0xffff
	s_add_co_i32 s5, s5, 1
	s_add_co_i32 s7, s7, 1
	s_and_b32 s3, ttmp6, 15
	s_bfe_u32 s8, ttmp6, 0x40004
	s_mul_i32 s5, ttmp9, s5
	s_mul_i32 s7, s6, s7
	s_getreg_b32 s4, hwreg(HW_REG_IB_STS2, 6, 4)
	v_bfe_u32 v2, v0, 10, 10
	v_and_b32_e32 v0, 0x3ff, v0
	s_add_co_i32 s3, s3, s5
	s_add_co_i32 s8, s8, s7
	s_mov_b32 s21, 0
	s_wait_kmcnt 0x0
	s_and_b32 s5, s2, 0xffff
	s_lshr_b32 s2, s2, 16
	s_cmp_eq_u32 s4, 0
	s_cselect_b32 s3, ttmp9, s3
	s_cselect_b32 s6, s6, s8
	v_mad_u32 v1, s3, s5, v0
	v_mad_u32 v3, s6, s2, v2
	s_delay_alu instid0(VALU_DEP_2) | instskip(NEXT) | instid1(VALU_DEP_2)
	v_cmp_gt_i32_e32 vcc_lo, s12, v1
	v_cmp_gt_i32_e64 s2, s13, v3
	s_and_b32 s2, vcc_lo, s2
	s_delay_alu instid0(SALU_CYCLE_1)
	s_and_saveexec_b32 s3, s2
	s_cbranch_execz .LBB12_10
; %bb.1:
	s_clause 0x2
	s_load_b64 s[2:3], s[0:1], 0x10
	s_load_b64 s[12:13], s[0:1], 0x60
	s_load_b128 s[16:19], s[0:1], 0x68
	s_bfe_u32 s5, ttmp6, 0x40014
	s_lshr_b32 s6, ttmp7, 16
	s_add_co_i32 s5, s5, 1
	s_bfe_u32 s7, ttmp6, 0x40008
	s_mul_i32 s5, s6, s5
	s_delay_alu instid0(SALU_CYCLE_1)
	s_add_co_i32 s7, s7, s5
	s_cmp_eq_u32 s4, 0
	s_cselect_b32 s20, s6, s7
	s_cmp_lt_i32 s14, 1
	s_cbranch_scc1 .LBB12_8
; %bb.2:
	s_clause 0x3
	s_load_b128 s[24:27], s[0:1], 0x40
	s_load_b32 s30, s[0:1], 0x38
	s_load_b256 s[4:11], s[0:1], 0x18
	s_load_b64 s[22:23], s[0:1], 0x50
	s_wait_kmcnt 0x0
	s_bitcmp1_b32 s3, 0
	v_dual_mov_b32 v0, 0 :: v_dual_mov_b32 v2, 0
	s_cselect_b32 s3, -1, 0
	s_delay_alu instid0(SALU_CYCLE_1)
	s_xor_b32 s3, s3, -1
	s_load_b64 s[28:29], s[24:25], s20 offset:0x0 scale_offset
	s_bitcmp1_b32 s30, 0
	v_mul_lo_u32 v4, v1, s8
	v_mul_lo_u32 v10, v3, s23
	s_mul_u64 s[10:11], s[10:11], s[20:21]
	s_wait_xcnt 0x0
	s_cselect_b32 s24, -1, 0
	s_lshl_b64 s[10:11], s[10:11], 3
	s_lshl_b64 s[6:7], s[6:7], 3
	s_add_nc_u64 s[4:5], s[4:5], s[10:11]
	s_lshl_b64 s[10:11], s[26:27], 3
	s_add_nc_u64 s[4:5], s[4:5], s[6:7]
	s_wait_kmcnt 0x0
	s_add_nc_u64 s[6:7], s[28:29], s[10:11]
	s_branch .LBB12_4
.LBB12_3:                               ;   in Loop: Header=BB12_4 Depth=1
	flat_load_b64 v[8:9], v10, s[6:7] scale_offset
	s_add_co_i32 s14, s14, -1
	v_add_nc_u32_e32 v4, s9, v4
	s_cmp_eq_u32 s14, 0
	s_wait_loadcnt_dscnt 0x0
	v_dual_cndmask_b32 v5, v9, -v9, s24 :: v_dual_mul_f32 v9, v7, v8
	s_delay_alu instid0(VALU_DEP_1) | instskip(SKIP_1) | instid1(VALU_DEP_2)
	v_dual_mul_f32 v7, v7, v5 :: v_dual_fmac_f32 v9, v5, v6
	v_add_nc_u32_e32 v10, s22, v10
	v_fma_f32 v5, v8, v6, -v7
	s_delay_alu instid0(VALU_DEP_3) | instskip(NEXT) | instid1(VALU_DEP_2)
	v_add_f32_e32 v0, v0, v9
	v_add_f32_e32 v2, v2, v5
	s_cbranch_scc1 .LBB12_9
.LBB12_4:                               ; =>This Inner Loop Header: Depth=1
	v_ashrrev_i32_e32 v5, 31, v4
	s_and_b32 vcc_lo, exec_lo, s3
	s_mov_b32 s8, -1
                                        ; implicit-def: $vgpr7
	s_delay_alu instid0(VALU_DEP_1)
	v_lshl_add_u64 v[8:9], v[4:5], 3, s[4:5]
	s_cbranch_vccz .LBB12_6
; %bb.5:                                ;   in Loop: Header=BB12_4 Depth=1
	global_load_b64 v[6:7], v[8:9], off
	s_mov_b32 s8, 0
.LBB12_6:                               ;   in Loop: Header=BB12_4 Depth=1
	s_delay_alu instid0(SALU_CYCLE_1)
	s_and_not1_b32 vcc_lo, exec_lo, s8
	s_cbranch_vccnz .LBB12_3
; %bb.7:                                ;   in Loop: Header=BB12_4 Depth=1
	s_wait_loadcnt 0x0
	global_load_b64 v[6:7], v[8:9], off
	s_wait_loadcnt 0x0
	v_xor_b32_e32 v7, 0x80000000, v7
	s_branch .LBB12_3
.LBB12_8:
	v_dual_mov_b32 v0, 0 :: v_dual_mov_b32 v2, 0
.LBB12_9:
	s_wait_kmcnt 0x0
	s_load_b64 s[4:5], s[16:17], s20 offset:0x0 scale_offset
	s_nop 0
	s_load_b64 s[0:1], s[0:1], 0x78
	v_dual_mov_b32 v6, s2 :: v_dual_mov_b32 v7, s15
	v_mov_b64_e32 v[8:9], s[12:13]
	s_wait_kmcnt 0x0
	v_mul_lo_u32 v1, v1, s0
	s_delay_alu instid0(VALU_DEP_1)
	v_mad_u32 v16, v3, s1, v1
	s_lshl_b64 s[0:1], s[18:19], 3
	v_pk_mul_f32 v[0:1], v[6:7], v[0:1] op_sel_hi:[1,0]
	s_add_nc_u64 s[0:1], s[4:5], s[0:1]
	s_mov_b32 s4, s15
	s_mov_b32 s5, s2
	s_delay_alu instid0(SALU_CYCLE_1)
	v_mov_b64_e32 v[6:7], s[4:5]
	flat_load_b64 v[4:5], v16, s[0:1] scale_offset
	v_pk_fma_f32 v[12:13], v[6:7], v[2:3], v[0:1] op_sel_hi:[1,0,1]
	v_pk_fma_f32 v[0:1], v[6:7], v[2:3], v[0:1] neg_lo:[0,0,1] neg_hi:[0,0,1]
	s_wait_loadcnt_dscnt 0x0
	v_pk_mul_f32 v[10:11], v[8:9], v[4:5] op_sel:[1,1] op_sel_hi:[0,1]
	s_delay_alu instid0(VALU_DEP_1) | instskip(SKIP_1) | instid1(VALU_DEP_2)
	v_pk_fma_f32 v[14:15], v[8:9], v[4:5], v[10:11] op_sel_hi:[1,0,1]
	v_pk_fma_f32 v[2:3], v[8:9], v[4:5], v[10:11] neg_lo:[0,0,1] neg_hi:[0,0,1]
	v_dual_mov_b32 v1, v13 :: v_dual_mov_b32 v3, v15
	s_delay_alu instid0(VALU_DEP_1)
	v_pk_add_f32 v[0:1], v[0:1], v[2:3]
	flat_store_b64 v16, v[0:1], s[0:1] scale_offset
.LBB12_10:
	s_endpgm
	.section	.rodata,"a",@progbits
	.p2align	6, 0x0
	.amdhsa_kernel _ZN9rocsolver6v33100L11gemm_kernelI19rocblas_complex_numIfEiS3_PS3_PKS4_S6_EEvT0_S7_S7_T1_bT2_lS7_S7_lbT3_lS7_S7_lS8_T4_lS7_S7_l
		.amdhsa_group_segment_fixed_size 0
		.amdhsa_private_segment_fixed_size 0
		.amdhsa_kernarg_size 392
		.amdhsa_user_sgpr_count 2
		.amdhsa_user_sgpr_dispatch_ptr 0
		.amdhsa_user_sgpr_queue_ptr 0
		.amdhsa_user_sgpr_kernarg_segment_ptr 1
		.amdhsa_user_sgpr_dispatch_id 0
		.amdhsa_user_sgpr_kernarg_preload_length 0
		.amdhsa_user_sgpr_kernarg_preload_offset 0
		.amdhsa_user_sgpr_private_segment_size 0
		.amdhsa_wavefront_size32 1
		.amdhsa_uses_dynamic_stack 0
		.amdhsa_enable_private_segment 0
		.amdhsa_system_sgpr_workgroup_id_x 1
		.amdhsa_system_sgpr_workgroup_id_y 1
		.amdhsa_system_sgpr_workgroup_id_z 1
		.amdhsa_system_sgpr_workgroup_info 0
		.amdhsa_system_vgpr_workitem_id 1
		.amdhsa_next_free_vgpr 17
		.amdhsa_next_free_sgpr 31
		.amdhsa_named_barrier_count 0
		.amdhsa_reserve_vcc 1
		.amdhsa_float_round_mode_32 0
		.amdhsa_float_round_mode_16_64 0
		.amdhsa_float_denorm_mode_32 3
		.amdhsa_float_denorm_mode_16_64 3
		.amdhsa_fp16_overflow 0
		.amdhsa_memory_ordered 1
		.amdhsa_forward_progress 1
		.amdhsa_inst_pref_size 7
		.amdhsa_round_robin_scheduling 0
		.amdhsa_exception_fp_ieee_invalid_op 0
		.amdhsa_exception_fp_denorm_src 0
		.amdhsa_exception_fp_ieee_div_zero 0
		.amdhsa_exception_fp_ieee_overflow 0
		.amdhsa_exception_fp_ieee_underflow 0
		.amdhsa_exception_fp_ieee_inexact 0
		.amdhsa_exception_int_div_zero 0
	.end_amdhsa_kernel
	.section	.text._ZN9rocsolver6v33100L11gemm_kernelI19rocblas_complex_numIfEiS3_PS3_PKS4_S6_EEvT0_S7_S7_T1_bT2_lS7_S7_lbT3_lS7_S7_lS8_T4_lS7_S7_l,"axG",@progbits,_ZN9rocsolver6v33100L11gemm_kernelI19rocblas_complex_numIfEiS3_PS3_PKS4_S6_EEvT0_S7_S7_T1_bT2_lS7_S7_lbT3_lS7_S7_lS8_T4_lS7_S7_l,comdat
.Lfunc_end12:
	.size	_ZN9rocsolver6v33100L11gemm_kernelI19rocblas_complex_numIfEiS3_PS3_PKS4_S6_EEvT0_S7_S7_T1_bT2_lS7_S7_lbT3_lS7_S7_lS8_T4_lS7_S7_l, .Lfunc_end12-_ZN9rocsolver6v33100L11gemm_kernelI19rocblas_complex_numIfEiS3_PS3_PKS4_S6_EEvT0_S7_S7_T1_bT2_lS7_S7_lbT3_lS7_S7_lS8_T4_lS7_S7_l
                                        ; -- End function
	.set _ZN9rocsolver6v33100L11gemm_kernelI19rocblas_complex_numIfEiS3_PS3_PKS4_S6_EEvT0_S7_S7_T1_bT2_lS7_S7_lbT3_lS7_S7_lS8_T4_lS7_S7_l.num_vgpr, 17
	.set _ZN9rocsolver6v33100L11gemm_kernelI19rocblas_complex_numIfEiS3_PS3_PKS4_S6_EEvT0_S7_S7_T1_bT2_lS7_S7_lbT3_lS7_S7_lS8_T4_lS7_S7_l.num_agpr, 0
	.set _ZN9rocsolver6v33100L11gemm_kernelI19rocblas_complex_numIfEiS3_PS3_PKS4_S6_EEvT0_S7_S7_T1_bT2_lS7_S7_lbT3_lS7_S7_lS8_T4_lS7_S7_l.numbered_sgpr, 31
	.set _ZN9rocsolver6v33100L11gemm_kernelI19rocblas_complex_numIfEiS3_PS3_PKS4_S6_EEvT0_S7_S7_T1_bT2_lS7_S7_lbT3_lS7_S7_lS8_T4_lS7_S7_l.num_named_barrier, 0
	.set _ZN9rocsolver6v33100L11gemm_kernelI19rocblas_complex_numIfEiS3_PS3_PKS4_S6_EEvT0_S7_S7_T1_bT2_lS7_S7_lbT3_lS7_S7_lS8_T4_lS7_S7_l.private_seg_size, 0
	.set _ZN9rocsolver6v33100L11gemm_kernelI19rocblas_complex_numIfEiS3_PS3_PKS4_S6_EEvT0_S7_S7_T1_bT2_lS7_S7_lbT3_lS7_S7_lS8_T4_lS7_S7_l.uses_vcc, 1
	.set _ZN9rocsolver6v33100L11gemm_kernelI19rocblas_complex_numIfEiS3_PS3_PKS4_S6_EEvT0_S7_S7_T1_bT2_lS7_S7_lbT3_lS7_S7_lS8_T4_lS7_S7_l.uses_flat_scratch, 0
	.set _ZN9rocsolver6v33100L11gemm_kernelI19rocblas_complex_numIfEiS3_PS3_PKS4_S6_EEvT0_S7_S7_T1_bT2_lS7_S7_lbT3_lS7_S7_lS8_T4_lS7_S7_l.has_dyn_sized_stack, 0
	.set _ZN9rocsolver6v33100L11gemm_kernelI19rocblas_complex_numIfEiS3_PS3_PKS4_S6_EEvT0_S7_S7_T1_bT2_lS7_S7_lbT3_lS7_S7_lS8_T4_lS7_S7_l.has_recursion, 0
	.set _ZN9rocsolver6v33100L11gemm_kernelI19rocblas_complex_numIfEiS3_PS3_PKS4_S6_EEvT0_S7_S7_T1_bT2_lS7_S7_lbT3_lS7_S7_lS8_T4_lS7_S7_l.has_indirect_call, 0
	.section	.AMDGPU.csdata,"",@progbits
; Kernel info:
; codeLenInByte = 776
; TotalNumSgprs: 33
; NumVgprs: 17
; ScratchSize: 0
; MemoryBound: 0
; FloatMode: 240
; IeeeMode: 1
; LDSByteSize: 0 bytes/workgroup (compile time only)
; SGPRBlocks: 0
; VGPRBlocks: 1
; NumSGPRsForWavesPerEU: 33
; NumVGPRsForWavesPerEU: 17
; NamedBarCnt: 0
; Occupancy: 16
; WaveLimiterHint : 1
; COMPUTE_PGM_RSRC2:SCRATCH_EN: 0
; COMPUTE_PGM_RSRC2:USER_SGPR: 2
; COMPUTE_PGM_RSRC2:TRAP_HANDLER: 0
; COMPUTE_PGM_RSRC2:TGID_X_EN: 1
; COMPUTE_PGM_RSRC2:TGID_Y_EN: 1
; COMPUTE_PGM_RSRC2:TGID_Z_EN: 1
; COMPUTE_PGM_RSRC2:TIDIG_COMP_CNT: 1
	.section	.text._ZN9rocsolver6v33100L16mfma_gemm_kernelI19rocblas_complex_numIfEiPKS3_PKPS3_S6_S8_EEv18rocblas_operation_S9_T0_SA_SA_T1_T2_lSA_SA_lT3_lSA_SA_lSB_T4_lSA_SA_l,"axG",@progbits,_ZN9rocsolver6v33100L16mfma_gemm_kernelI19rocblas_complex_numIfEiPKS3_PKPS3_S6_S8_EEv18rocblas_operation_S9_T0_SA_SA_T1_T2_lSA_SA_lT3_lSA_SA_lSB_T4_lSA_SA_l,comdat
	.globl	_ZN9rocsolver6v33100L16mfma_gemm_kernelI19rocblas_complex_numIfEiPKS3_PKPS3_S6_S8_EEv18rocblas_operation_S9_T0_SA_SA_T1_T2_lSA_SA_lT3_lSA_SA_lSB_T4_lSA_SA_l ; -- Begin function _ZN9rocsolver6v33100L16mfma_gemm_kernelI19rocblas_complex_numIfEiPKS3_PKPS3_S6_S8_EEv18rocblas_operation_S9_T0_SA_SA_T1_T2_lSA_SA_lT3_lSA_SA_lSB_T4_lSA_SA_l
	.p2align	8
	.type	_ZN9rocsolver6v33100L16mfma_gemm_kernelI19rocblas_complex_numIfEiPKS3_PKPS3_S6_S8_EEv18rocblas_operation_S9_T0_SA_SA_T1_T2_lSA_SA_lT3_lSA_SA_lSB_T4_lSA_SA_l,@function
_ZN9rocsolver6v33100L16mfma_gemm_kernelI19rocblas_complex_numIfEiPKS3_PKPS3_S6_S8_EEv18rocblas_operation_S9_T0_SA_SA_T1_T2_lSA_SA_lT3_lSA_SA_lSB_T4_lSA_SA_l: ; @_ZN9rocsolver6v33100L16mfma_gemm_kernelI19rocblas_complex_numIfEiPKS3_PKPS3_S6_S8_EEv18rocblas_operation_S9_T0_SA_SA_T1_T2_lSA_SA_lT3_lSA_SA_lSB_T4_lSA_SA_l
; %bb.0:
	s_endpgm
	.section	.rodata,"a",@progbits
	.p2align	6, 0x0
	.amdhsa_kernel _ZN9rocsolver6v33100L16mfma_gemm_kernelI19rocblas_complex_numIfEiPKS3_PKPS3_S6_S8_EEv18rocblas_operation_S9_T0_SA_SA_T1_T2_lSA_SA_lT3_lSA_SA_lSB_T4_lSA_SA_l
		.amdhsa_group_segment_fixed_size 0
		.amdhsa_private_segment_fixed_size 0
		.amdhsa_kernarg_size 136
		.amdhsa_user_sgpr_count 2
		.amdhsa_user_sgpr_dispatch_ptr 0
		.amdhsa_user_sgpr_queue_ptr 0
		.amdhsa_user_sgpr_kernarg_segment_ptr 1
		.amdhsa_user_sgpr_dispatch_id 0
		.amdhsa_user_sgpr_kernarg_preload_length 0
		.amdhsa_user_sgpr_kernarg_preload_offset 0
		.amdhsa_user_sgpr_private_segment_size 0
		.amdhsa_wavefront_size32 1
		.amdhsa_uses_dynamic_stack 0
		.amdhsa_enable_private_segment 0
		.amdhsa_system_sgpr_workgroup_id_x 1
		.amdhsa_system_sgpr_workgroup_id_y 0
		.amdhsa_system_sgpr_workgroup_id_z 0
		.amdhsa_system_sgpr_workgroup_info 0
		.amdhsa_system_vgpr_workitem_id 0
		.amdhsa_next_free_vgpr 1
		.amdhsa_next_free_sgpr 1
		.amdhsa_named_barrier_count 0
		.amdhsa_reserve_vcc 0
		.amdhsa_float_round_mode_32 0
		.amdhsa_float_round_mode_16_64 0
		.amdhsa_float_denorm_mode_32 3
		.amdhsa_float_denorm_mode_16_64 3
		.amdhsa_fp16_overflow 0
		.amdhsa_memory_ordered 1
		.amdhsa_forward_progress 1
		.amdhsa_inst_pref_size 1
		.amdhsa_round_robin_scheduling 0
		.amdhsa_exception_fp_ieee_invalid_op 0
		.amdhsa_exception_fp_denorm_src 0
		.amdhsa_exception_fp_ieee_div_zero 0
		.amdhsa_exception_fp_ieee_overflow 0
		.amdhsa_exception_fp_ieee_underflow 0
		.amdhsa_exception_fp_ieee_inexact 0
		.amdhsa_exception_int_div_zero 0
	.end_amdhsa_kernel
	.section	.text._ZN9rocsolver6v33100L16mfma_gemm_kernelI19rocblas_complex_numIfEiPKS3_PKPS3_S6_S8_EEv18rocblas_operation_S9_T0_SA_SA_T1_T2_lSA_SA_lT3_lSA_SA_lSB_T4_lSA_SA_l,"axG",@progbits,_ZN9rocsolver6v33100L16mfma_gemm_kernelI19rocblas_complex_numIfEiPKS3_PKPS3_S6_S8_EEv18rocblas_operation_S9_T0_SA_SA_T1_T2_lSA_SA_lT3_lSA_SA_lSB_T4_lSA_SA_l,comdat
.Lfunc_end13:
	.size	_ZN9rocsolver6v33100L16mfma_gemm_kernelI19rocblas_complex_numIfEiPKS3_PKPS3_S6_S8_EEv18rocblas_operation_S9_T0_SA_SA_T1_T2_lSA_SA_lT3_lSA_SA_lSB_T4_lSA_SA_l, .Lfunc_end13-_ZN9rocsolver6v33100L16mfma_gemm_kernelI19rocblas_complex_numIfEiPKS3_PKPS3_S6_S8_EEv18rocblas_operation_S9_T0_SA_SA_T1_T2_lSA_SA_lT3_lSA_SA_lSB_T4_lSA_SA_l
                                        ; -- End function
	.set _ZN9rocsolver6v33100L16mfma_gemm_kernelI19rocblas_complex_numIfEiPKS3_PKPS3_S6_S8_EEv18rocblas_operation_S9_T0_SA_SA_T1_T2_lSA_SA_lT3_lSA_SA_lSB_T4_lSA_SA_l.num_vgpr, 0
	.set _ZN9rocsolver6v33100L16mfma_gemm_kernelI19rocblas_complex_numIfEiPKS3_PKPS3_S6_S8_EEv18rocblas_operation_S9_T0_SA_SA_T1_T2_lSA_SA_lT3_lSA_SA_lSB_T4_lSA_SA_l.num_agpr, 0
	.set _ZN9rocsolver6v33100L16mfma_gemm_kernelI19rocblas_complex_numIfEiPKS3_PKPS3_S6_S8_EEv18rocblas_operation_S9_T0_SA_SA_T1_T2_lSA_SA_lT3_lSA_SA_lSB_T4_lSA_SA_l.numbered_sgpr, 0
	.set _ZN9rocsolver6v33100L16mfma_gemm_kernelI19rocblas_complex_numIfEiPKS3_PKPS3_S6_S8_EEv18rocblas_operation_S9_T0_SA_SA_T1_T2_lSA_SA_lT3_lSA_SA_lSB_T4_lSA_SA_l.num_named_barrier, 0
	.set _ZN9rocsolver6v33100L16mfma_gemm_kernelI19rocblas_complex_numIfEiPKS3_PKPS3_S6_S8_EEv18rocblas_operation_S9_T0_SA_SA_T1_T2_lSA_SA_lT3_lSA_SA_lSB_T4_lSA_SA_l.private_seg_size, 0
	.set _ZN9rocsolver6v33100L16mfma_gemm_kernelI19rocblas_complex_numIfEiPKS3_PKPS3_S6_S8_EEv18rocblas_operation_S9_T0_SA_SA_T1_T2_lSA_SA_lT3_lSA_SA_lSB_T4_lSA_SA_l.uses_vcc, 0
	.set _ZN9rocsolver6v33100L16mfma_gemm_kernelI19rocblas_complex_numIfEiPKS3_PKPS3_S6_S8_EEv18rocblas_operation_S9_T0_SA_SA_T1_T2_lSA_SA_lT3_lSA_SA_lSB_T4_lSA_SA_l.uses_flat_scratch, 0
	.set _ZN9rocsolver6v33100L16mfma_gemm_kernelI19rocblas_complex_numIfEiPKS3_PKPS3_S6_S8_EEv18rocblas_operation_S9_T0_SA_SA_T1_T2_lSA_SA_lT3_lSA_SA_lSB_T4_lSA_SA_l.has_dyn_sized_stack, 0
	.set _ZN9rocsolver6v33100L16mfma_gemm_kernelI19rocblas_complex_numIfEiPKS3_PKPS3_S6_S8_EEv18rocblas_operation_S9_T0_SA_SA_T1_T2_lSA_SA_lT3_lSA_SA_lSB_T4_lSA_SA_l.has_recursion, 0
	.set _ZN9rocsolver6v33100L16mfma_gemm_kernelI19rocblas_complex_numIfEiPKS3_PKPS3_S6_S8_EEv18rocblas_operation_S9_T0_SA_SA_T1_T2_lSA_SA_lT3_lSA_SA_lSB_T4_lSA_SA_l.has_indirect_call, 0
	.section	.AMDGPU.csdata,"",@progbits
; Kernel info:
; codeLenInByte = 4
; TotalNumSgprs: 0
; NumVgprs: 0
; ScratchSize: 0
; MemoryBound: 0
; FloatMode: 240
; IeeeMode: 1
; LDSByteSize: 0 bytes/workgroup (compile time only)
; SGPRBlocks: 0
; VGPRBlocks: 0
; NumSGPRsForWavesPerEU: 1
; NumVGPRsForWavesPerEU: 1
; NamedBarCnt: 0
; Occupancy: 16
; WaveLimiterHint : 0
; COMPUTE_PGM_RSRC2:SCRATCH_EN: 0
; COMPUTE_PGM_RSRC2:USER_SGPR: 2
; COMPUTE_PGM_RSRC2:TRAP_HANDLER: 0
; COMPUTE_PGM_RSRC2:TGID_X_EN: 1
; COMPUTE_PGM_RSRC2:TGID_Y_EN: 0
; COMPUTE_PGM_RSRC2:TGID_Z_EN: 0
; COMPUTE_PGM_RSRC2:TIDIG_COMP_CNT: 0
	.section	.text._ZN9rocsolver6v33100L16mfma_gemm_kernelI19rocblas_complex_numIfEiS3_PKPS3_S4_S6_EEv18rocblas_operation_S7_T0_S8_S8_T1_T2_lS8_S8_lT3_lS8_S8_lS9_T4_lS8_S8_l,"axG",@progbits,_ZN9rocsolver6v33100L16mfma_gemm_kernelI19rocblas_complex_numIfEiS3_PKPS3_S4_S6_EEv18rocblas_operation_S7_T0_S8_S8_T1_T2_lS8_S8_lT3_lS8_S8_lS9_T4_lS8_S8_l,comdat
	.globl	_ZN9rocsolver6v33100L16mfma_gemm_kernelI19rocblas_complex_numIfEiS3_PKPS3_S4_S6_EEv18rocblas_operation_S7_T0_S8_S8_T1_T2_lS8_S8_lT3_lS8_S8_lS9_T4_lS8_S8_l ; -- Begin function _ZN9rocsolver6v33100L16mfma_gemm_kernelI19rocblas_complex_numIfEiS3_PKPS3_S4_S6_EEv18rocblas_operation_S7_T0_S8_S8_T1_T2_lS8_S8_lT3_lS8_S8_lS9_T4_lS8_S8_l
	.p2align	8
	.type	_ZN9rocsolver6v33100L16mfma_gemm_kernelI19rocblas_complex_numIfEiS3_PKPS3_S4_S6_EEv18rocblas_operation_S7_T0_S8_S8_T1_T2_lS8_S8_lT3_lS8_S8_lS9_T4_lS8_S8_l,@function
_ZN9rocsolver6v33100L16mfma_gemm_kernelI19rocblas_complex_numIfEiS3_PKPS3_S4_S6_EEv18rocblas_operation_S7_T0_S8_S8_T1_T2_lS8_S8_lT3_lS8_S8_lS9_T4_lS8_S8_l: ; @_ZN9rocsolver6v33100L16mfma_gemm_kernelI19rocblas_complex_numIfEiS3_PKPS3_S4_S6_EEv18rocblas_operation_S7_T0_S8_S8_T1_T2_lS8_S8_lT3_lS8_S8_lS9_T4_lS8_S8_l
; %bb.0:
	s_endpgm
	.section	.rodata,"a",@progbits
	.p2align	6, 0x0
	.amdhsa_kernel _ZN9rocsolver6v33100L16mfma_gemm_kernelI19rocblas_complex_numIfEiS3_PKPS3_S4_S6_EEv18rocblas_operation_S7_T0_S8_S8_T1_T2_lS8_S8_lT3_lS8_S8_lS9_T4_lS8_S8_l
		.amdhsa_group_segment_fixed_size 0
		.amdhsa_private_segment_fixed_size 0
		.amdhsa_kernarg_size 136
		.amdhsa_user_sgpr_count 2
		.amdhsa_user_sgpr_dispatch_ptr 0
		.amdhsa_user_sgpr_queue_ptr 0
		.amdhsa_user_sgpr_kernarg_segment_ptr 1
		.amdhsa_user_sgpr_dispatch_id 0
		.amdhsa_user_sgpr_kernarg_preload_length 0
		.amdhsa_user_sgpr_kernarg_preload_offset 0
		.amdhsa_user_sgpr_private_segment_size 0
		.amdhsa_wavefront_size32 1
		.amdhsa_uses_dynamic_stack 0
		.amdhsa_enable_private_segment 0
		.amdhsa_system_sgpr_workgroup_id_x 1
		.amdhsa_system_sgpr_workgroup_id_y 0
		.amdhsa_system_sgpr_workgroup_id_z 0
		.amdhsa_system_sgpr_workgroup_info 0
		.amdhsa_system_vgpr_workitem_id 0
		.amdhsa_next_free_vgpr 1
		.amdhsa_next_free_sgpr 1
		.amdhsa_named_barrier_count 0
		.amdhsa_reserve_vcc 0
		.amdhsa_float_round_mode_32 0
		.amdhsa_float_round_mode_16_64 0
		.amdhsa_float_denorm_mode_32 3
		.amdhsa_float_denorm_mode_16_64 3
		.amdhsa_fp16_overflow 0
		.amdhsa_memory_ordered 1
		.amdhsa_forward_progress 1
		.amdhsa_inst_pref_size 1
		.amdhsa_round_robin_scheduling 0
		.amdhsa_exception_fp_ieee_invalid_op 0
		.amdhsa_exception_fp_denorm_src 0
		.amdhsa_exception_fp_ieee_div_zero 0
		.amdhsa_exception_fp_ieee_overflow 0
		.amdhsa_exception_fp_ieee_underflow 0
		.amdhsa_exception_fp_ieee_inexact 0
		.amdhsa_exception_int_div_zero 0
	.end_amdhsa_kernel
	.section	.text._ZN9rocsolver6v33100L16mfma_gemm_kernelI19rocblas_complex_numIfEiS3_PKPS3_S4_S6_EEv18rocblas_operation_S7_T0_S8_S8_T1_T2_lS8_S8_lT3_lS8_S8_lS9_T4_lS8_S8_l,"axG",@progbits,_ZN9rocsolver6v33100L16mfma_gemm_kernelI19rocblas_complex_numIfEiS3_PKPS3_S4_S6_EEv18rocblas_operation_S7_T0_S8_S8_T1_T2_lS8_S8_lT3_lS8_S8_lS9_T4_lS8_S8_l,comdat
.Lfunc_end14:
	.size	_ZN9rocsolver6v33100L16mfma_gemm_kernelI19rocblas_complex_numIfEiS3_PKPS3_S4_S6_EEv18rocblas_operation_S7_T0_S8_S8_T1_T2_lS8_S8_lT3_lS8_S8_lS9_T4_lS8_S8_l, .Lfunc_end14-_ZN9rocsolver6v33100L16mfma_gemm_kernelI19rocblas_complex_numIfEiS3_PKPS3_S4_S6_EEv18rocblas_operation_S7_T0_S8_S8_T1_T2_lS8_S8_lT3_lS8_S8_lS9_T4_lS8_S8_l
                                        ; -- End function
	.set _ZN9rocsolver6v33100L16mfma_gemm_kernelI19rocblas_complex_numIfEiS3_PKPS3_S4_S6_EEv18rocblas_operation_S7_T0_S8_S8_T1_T2_lS8_S8_lT3_lS8_S8_lS9_T4_lS8_S8_l.num_vgpr, 0
	.set _ZN9rocsolver6v33100L16mfma_gemm_kernelI19rocblas_complex_numIfEiS3_PKPS3_S4_S6_EEv18rocblas_operation_S7_T0_S8_S8_T1_T2_lS8_S8_lT3_lS8_S8_lS9_T4_lS8_S8_l.num_agpr, 0
	.set _ZN9rocsolver6v33100L16mfma_gemm_kernelI19rocblas_complex_numIfEiS3_PKPS3_S4_S6_EEv18rocblas_operation_S7_T0_S8_S8_T1_T2_lS8_S8_lT3_lS8_S8_lS9_T4_lS8_S8_l.numbered_sgpr, 0
	.set _ZN9rocsolver6v33100L16mfma_gemm_kernelI19rocblas_complex_numIfEiS3_PKPS3_S4_S6_EEv18rocblas_operation_S7_T0_S8_S8_T1_T2_lS8_S8_lT3_lS8_S8_lS9_T4_lS8_S8_l.num_named_barrier, 0
	.set _ZN9rocsolver6v33100L16mfma_gemm_kernelI19rocblas_complex_numIfEiS3_PKPS3_S4_S6_EEv18rocblas_operation_S7_T0_S8_S8_T1_T2_lS8_S8_lT3_lS8_S8_lS9_T4_lS8_S8_l.private_seg_size, 0
	.set _ZN9rocsolver6v33100L16mfma_gemm_kernelI19rocblas_complex_numIfEiS3_PKPS3_S4_S6_EEv18rocblas_operation_S7_T0_S8_S8_T1_T2_lS8_S8_lT3_lS8_S8_lS9_T4_lS8_S8_l.uses_vcc, 0
	.set _ZN9rocsolver6v33100L16mfma_gemm_kernelI19rocblas_complex_numIfEiS3_PKPS3_S4_S6_EEv18rocblas_operation_S7_T0_S8_S8_T1_T2_lS8_S8_lT3_lS8_S8_lS9_T4_lS8_S8_l.uses_flat_scratch, 0
	.set _ZN9rocsolver6v33100L16mfma_gemm_kernelI19rocblas_complex_numIfEiS3_PKPS3_S4_S6_EEv18rocblas_operation_S7_T0_S8_S8_T1_T2_lS8_S8_lT3_lS8_S8_lS9_T4_lS8_S8_l.has_dyn_sized_stack, 0
	.set _ZN9rocsolver6v33100L16mfma_gemm_kernelI19rocblas_complex_numIfEiS3_PKPS3_S4_S6_EEv18rocblas_operation_S7_T0_S8_S8_T1_T2_lS8_S8_lT3_lS8_S8_lS9_T4_lS8_S8_l.has_recursion, 0
	.set _ZN9rocsolver6v33100L16mfma_gemm_kernelI19rocblas_complex_numIfEiS3_PKPS3_S4_S6_EEv18rocblas_operation_S7_T0_S8_S8_T1_T2_lS8_S8_lT3_lS8_S8_lS9_T4_lS8_S8_l.has_indirect_call, 0
	.section	.AMDGPU.csdata,"",@progbits
; Kernel info:
; codeLenInByte = 4
; TotalNumSgprs: 0
; NumVgprs: 0
; ScratchSize: 0
; MemoryBound: 0
; FloatMode: 240
; IeeeMode: 1
; LDSByteSize: 0 bytes/workgroup (compile time only)
; SGPRBlocks: 0
; VGPRBlocks: 0
; NumSGPRsForWavesPerEU: 1
; NumVGPRsForWavesPerEU: 1
; NamedBarCnt: 0
; Occupancy: 16
; WaveLimiterHint : 0
; COMPUTE_PGM_RSRC2:SCRATCH_EN: 0
; COMPUTE_PGM_RSRC2:USER_SGPR: 2
; COMPUTE_PGM_RSRC2:TRAP_HANDLER: 0
; COMPUTE_PGM_RSRC2:TGID_X_EN: 1
; COMPUTE_PGM_RSRC2:TGID_Y_EN: 0
; COMPUTE_PGM_RSRC2:TGID_Z_EN: 0
; COMPUTE_PGM_RSRC2:TIDIG_COMP_CNT: 0
	.section	.text._ZN9rocsolver6v33100L11gemm_kernelI19rocblas_complex_numIfEiPKS3_PKPS3_S6_S8_EEvT0_S9_S9_T1_bT2_lS9_S9_lbT3_lS9_S9_lSA_T4_lS9_S9_l,"axG",@progbits,_ZN9rocsolver6v33100L11gemm_kernelI19rocblas_complex_numIfEiPKS3_PKPS3_S6_S8_EEvT0_S9_S9_T1_bT2_lS9_S9_lbT3_lS9_S9_lSA_T4_lS9_S9_l,comdat
	.globl	_ZN9rocsolver6v33100L11gemm_kernelI19rocblas_complex_numIfEiPKS3_PKPS3_S6_S8_EEvT0_S9_S9_T1_bT2_lS9_S9_lbT3_lS9_S9_lSA_T4_lS9_S9_l ; -- Begin function _ZN9rocsolver6v33100L11gemm_kernelI19rocblas_complex_numIfEiPKS3_PKPS3_S6_S8_EEvT0_S9_S9_T1_bT2_lS9_S9_lbT3_lS9_S9_lSA_T4_lS9_S9_l
	.p2align	8
	.type	_ZN9rocsolver6v33100L11gemm_kernelI19rocblas_complex_numIfEiPKS3_PKPS3_S6_S8_EEvT0_S9_S9_T1_bT2_lS9_S9_lbT3_lS9_S9_lSA_T4_lS9_S9_l,@function
_ZN9rocsolver6v33100L11gemm_kernelI19rocblas_complex_numIfEiPKS3_PKPS3_S6_S8_EEvT0_S9_S9_T1_bT2_lS9_S9_lbT3_lS9_S9_lSA_T4_lS9_S9_l: ; @_ZN9rocsolver6v33100L11gemm_kernelI19rocblas_complex_numIfEiPKS3_PKPS3_S6_S8_EEvT0_S9_S9_T1_bT2_lS9_S9_lbT3_lS9_S9_lSA_T4_lS9_S9_l
; %bb.0:
	s_clause 0x1
	s_load_b32 s2, s[0:1], 0x9c
	s_load_b96 s[12:14], s[0:1], 0x0
	s_bfe_u32 s4, ttmp6, 0x4000c
	s_bfe_u32 s6, ttmp6, 0x40010
	s_and_b32 s5, ttmp7, 0xffff
	s_add_co_i32 s4, s4, 1
	s_add_co_i32 s6, s6, 1
	s_and_b32 s3, ttmp6, 15
	s_bfe_u32 s7, ttmp6, 0x40004
	s_mul_i32 s4, ttmp9, s4
	s_mul_i32 s6, s5, s6
	s_getreg_b32 s15, hwreg(HW_REG_IB_STS2, 6, 4)
	v_bfe_u32 v2, v0, 10, 10
	v_and_b32_e32 v0, 0x3ff, v0
	s_add_co_i32 s3, s3, s4
	s_add_co_i32 s7, s7, s6
	s_mov_b32 s17, 0
	s_wait_kmcnt 0x0
	s_and_b32 s4, s2, 0xffff
	s_lshr_b32 s2, s2, 16
	s_cmp_eq_u32 s15, 0
	s_cselect_b32 s3, ttmp9, s3
	s_cselect_b32 s5, s5, s7
	v_mad_u32 v1, s3, s4, v0
	v_mad_u32 v3, s5, s2, v2
	s_delay_alu instid0(VALU_DEP_2) | instskip(NEXT) | instid1(VALU_DEP_2)
	v_cmp_gt_i32_e32 vcc_lo, s12, v1
	v_cmp_gt_i32_e64 s2, s13, v3
	s_and_b32 s2, vcc_lo, s2
	s_delay_alu instid0(SALU_CYCLE_1)
	s_and_saveexec_b32 s3, s2
	s_cbranch_execz .LBB15_10
; %bb.1:
	s_clause 0x1
	s_load_b64 s[18:19], s[0:1], 0x10
	s_load_b256 s[4:11], s[0:1], 0x60
	s_bfe_u32 s16, ttmp6, 0x40008
	s_wait_kmcnt 0x0
	s_load_b64 s[12:13], s[18:19], 0x0
	s_load_b64 s[2:3], s[6:7], 0x0
	s_wait_xcnt 0x0
	s_bfe_u32 s6, ttmp6, 0x40014
	s_lshr_b32 s7, ttmp7, 16
	s_add_co_i32 s6, s6, 1
	s_delay_alu instid0(SALU_CYCLE_1) | instskip(NEXT) | instid1(SALU_CYCLE_1)
	s_mul_i32 s6, s7, s6
	s_add_co_i32 s16, s16, s6
	s_cmp_eq_u32 s15, 0
	s_cselect_b32 s16, s7, s16
	s_cmp_lt_i32 s14, 1
	s_cbranch_scc1 .LBB15_8
; %bb.2:
	s_clause 0x5
	s_load_b128 s[20:23], s[0:1], 0x20
	s_load_b32 s15, s[0:1], 0x18
	s_load_b64 s[6:7], s[0:1], 0x30
	s_load_b64 s[18:19], s[0:1], 0x58
	s_load_b32 s28, s[0:1], 0x40
	s_load_b128 s[24:27], s[0:1], 0x48
	s_mul_u64 s[4:5], s[4:5], s[16:17]
	v_dual_mov_b32 v0, 0 :: v_dual_mov_b32 v2, 0
	s_wait_kmcnt 0x0
	s_load_b64 s[20:21], s[20:21], s16 offset:0x0 scale_offset
	s_bitcmp1_b32 s15, 0
	v_mul_lo_u32 v4, v1, s6
	s_cselect_b32 s6, -1, 0
	v_mul_lo_u32 v10, v3, s19
	s_xor_b32 s6, s6, -1
	s_bitcmp1_b32 s28, 0
	s_cselect_b32 s15, -1, 0
	s_lshl_b64 s[4:5], s[4:5], 3
	s_lshl_b64 s[22:23], s[22:23], 3
	;; [unrolled: 1-line block ×3, first 2 shown]
	s_add_nc_u64 s[24:25], s[24:25], s[4:5]
	s_wait_kmcnt 0x0
	s_add_nc_u64 s[4:5], s[20:21], s[22:23]
	s_add_nc_u64 s[20:21], s[24:25], s[26:27]
	s_branch .LBB15_4
.LBB15_3:                               ;   in Loop: Header=BB15_4 Depth=1
	global_load_b64 v[8:9], v10, s[20:21] scale_offset
	s_add_co_i32 s14, s14, -1
	v_add_nc_u32_e32 v4, s7, v4
	s_cmp_eq_u32 s14, 0
	s_wait_loadcnt_dscnt 0x0
	v_dual_cndmask_b32 v5, v9, -v9, s15 :: v_dual_mul_f32 v9, v7, v8
	s_delay_alu instid0(VALU_DEP_1) | instskip(SKIP_1) | instid1(VALU_DEP_2)
	v_dual_mul_f32 v7, v7, v5 :: v_dual_fmac_f32 v9, v5, v6
	v_add_nc_u32_e32 v10, s18, v10
	v_fma_f32 v5, v8, v6, -v7
	s_delay_alu instid0(VALU_DEP_3) | instskip(NEXT) | instid1(VALU_DEP_2)
	v_add_f32_e32 v0, v0, v9
	v_add_f32_e32 v2, v2, v5
	s_cbranch_scc1 .LBB15_9
.LBB15_4:                               ; =>This Inner Loop Header: Depth=1
	v_ashrrev_i32_e32 v5, 31, v4
	s_and_b32 vcc_lo, exec_lo, s6
	s_mov_b32 s17, -1
                                        ; implicit-def: $vgpr7
	s_delay_alu instid0(VALU_DEP_1)
	v_lshl_add_u64 v[8:9], v[4:5], 3, s[4:5]
	s_cbranch_vccz .LBB15_6
; %bb.5:                                ;   in Loop: Header=BB15_4 Depth=1
	flat_load_b64 v[6:7], v[8:9]
	s_mov_b32 s17, 0
.LBB15_6:                               ;   in Loop: Header=BB15_4 Depth=1
	s_delay_alu instid0(SALU_CYCLE_1)
	s_and_not1_b32 vcc_lo, exec_lo, s17
	s_cbranch_vccnz .LBB15_3
; %bb.7:                                ;   in Loop: Header=BB15_4 Depth=1
	s_wait_loadcnt_dscnt 0x0
	flat_load_b64 v[6:7], v[8:9]
	s_wait_loadcnt_dscnt 0x0
	v_xor_b32_e32 v7, 0x80000000, v7
	s_branch .LBB15_3
.LBB15_8:
	v_dual_mov_b32 v0, 0 :: v_dual_mov_b32 v2, 0
.LBB15_9:
	s_load_b64 s[4:5], s[8:9], s16 offset:0x0 scale_offset
	s_nop 0
	s_load_b64 s[0:1], s[0:1], 0x80
	s_wait_kmcnt 0x0
	v_mov_b64_e32 v[6:7], s[12:13]
	v_mov_b64_e32 v[8:9], s[2:3]
	v_mul_lo_u32 v1, v1, s0
	s_delay_alu instid0(VALU_DEP_1) | instskip(SKIP_1) | instid1(VALU_DEP_4)
	v_mad_u32 v16, v3, s1, v1
	s_lshl_b64 s[0:1], s[10:11], 3
	v_pk_mul_f32 v[0:1], v[6:7], v[0:1] op_sel:[1,0] op_sel_hi:[0,0]
	s_add_nc_u64 s[0:1], s[4:5], s[0:1]
	s_delay_alu instid0(VALU_DEP_1) | instskip(SKIP_4) | instid1(VALU_DEP_1)
	v_pk_fma_f32 v[12:13], v[6:7], v[2:3], v[0:1] op_sel_hi:[1,0,1]
	v_pk_fma_f32 v[0:1], v[6:7], v[2:3], v[0:1] neg_lo:[0,0,1] neg_hi:[0,0,1]
	flat_load_b64 v[4:5], v16, s[0:1] scale_offset
	s_wait_loadcnt_dscnt 0x0
	v_pk_mul_f32 v[10:11], v[8:9], v[4:5] op_sel:[1,1] op_sel_hi:[0,1]
	v_pk_fma_f32 v[14:15], v[8:9], v[4:5], v[10:11] op_sel_hi:[1,0,1]
	v_pk_fma_f32 v[2:3], v[8:9], v[4:5], v[10:11] neg_lo:[0,0,1] neg_hi:[0,0,1]
	s_delay_alu instid0(VALU_DEP_2) | instskip(NEXT) | instid1(VALU_DEP_1)
	v_dual_mov_b32 v1, v13 :: v_dual_mov_b32 v3, v15
	v_pk_add_f32 v[0:1], v[0:1], v[2:3]
	flat_store_b64 v16, v[0:1], s[0:1] scale_offset
.LBB15_10:
	s_endpgm
	.section	.rodata,"a",@progbits
	.p2align	6, 0x0
	.amdhsa_kernel _ZN9rocsolver6v33100L11gemm_kernelI19rocblas_complex_numIfEiPKS3_PKPS3_S6_S8_EEvT0_S9_S9_T1_bT2_lS9_S9_lbT3_lS9_S9_lSA_T4_lS9_S9_l
		.amdhsa_group_segment_fixed_size 0
		.amdhsa_private_segment_fixed_size 0
		.amdhsa_kernarg_size 400
		.amdhsa_user_sgpr_count 2
		.amdhsa_user_sgpr_dispatch_ptr 0
		.amdhsa_user_sgpr_queue_ptr 0
		.amdhsa_user_sgpr_kernarg_segment_ptr 1
		.amdhsa_user_sgpr_dispatch_id 0
		.amdhsa_user_sgpr_kernarg_preload_length 0
		.amdhsa_user_sgpr_kernarg_preload_offset 0
		.amdhsa_user_sgpr_private_segment_size 0
		.amdhsa_wavefront_size32 1
		.amdhsa_uses_dynamic_stack 0
		.amdhsa_enable_private_segment 0
		.amdhsa_system_sgpr_workgroup_id_x 1
		.amdhsa_system_sgpr_workgroup_id_y 1
		.amdhsa_system_sgpr_workgroup_id_z 1
		.amdhsa_system_sgpr_workgroup_info 0
		.amdhsa_system_vgpr_workitem_id 1
		.amdhsa_next_free_vgpr 17
		.amdhsa_next_free_sgpr 29
		.amdhsa_named_barrier_count 0
		.amdhsa_reserve_vcc 1
		.amdhsa_float_round_mode_32 0
		.amdhsa_float_round_mode_16_64 0
		.amdhsa_float_denorm_mode_32 3
		.amdhsa_float_denorm_mode_16_64 3
		.amdhsa_fp16_overflow 0
		.amdhsa_memory_ordered 1
		.amdhsa_forward_progress 1
		.amdhsa_inst_pref_size 7
		.amdhsa_round_robin_scheduling 0
		.amdhsa_exception_fp_ieee_invalid_op 0
		.amdhsa_exception_fp_denorm_src 0
		.amdhsa_exception_fp_ieee_div_zero 0
		.amdhsa_exception_fp_ieee_overflow 0
		.amdhsa_exception_fp_ieee_underflow 0
		.amdhsa_exception_fp_ieee_inexact 0
		.amdhsa_exception_int_div_zero 0
	.end_amdhsa_kernel
	.section	.text._ZN9rocsolver6v33100L11gemm_kernelI19rocblas_complex_numIfEiPKS3_PKPS3_S6_S8_EEvT0_S9_S9_T1_bT2_lS9_S9_lbT3_lS9_S9_lSA_T4_lS9_S9_l,"axG",@progbits,_ZN9rocsolver6v33100L11gemm_kernelI19rocblas_complex_numIfEiPKS3_PKPS3_S6_S8_EEvT0_S9_S9_T1_bT2_lS9_S9_lbT3_lS9_S9_lSA_T4_lS9_S9_l,comdat
.Lfunc_end15:
	.size	_ZN9rocsolver6v33100L11gemm_kernelI19rocblas_complex_numIfEiPKS3_PKPS3_S6_S8_EEvT0_S9_S9_T1_bT2_lS9_S9_lbT3_lS9_S9_lSA_T4_lS9_S9_l, .Lfunc_end15-_ZN9rocsolver6v33100L11gemm_kernelI19rocblas_complex_numIfEiPKS3_PKPS3_S6_S8_EEvT0_S9_S9_T1_bT2_lS9_S9_lbT3_lS9_S9_lSA_T4_lS9_S9_l
                                        ; -- End function
	.set _ZN9rocsolver6v33100L11gemm_kernelI19rocblas_complex_numIfEiPKS3_PKPS3_S6_S8_EEvT0_S9_S9_T1_bT2_lS9_S9_lbT3_lS9_S9_lSA_T4_lS9_S9_l.num_vgpr, 17
	.set _ZN9rocsolver6v33100L11gemm_kernelI19rocblas_complex_numIfEiPKS3_PKPS3_S6_S8_EEvT0_S9_S9_T1_bT2_lS9_S9_lbT3_lS9_S9_lSA_T4_lS9_S9_l.num_agpr, 0
	.set _ZN9rocsolver6v33100L11gemm_kernelI19rocblas_complex_numIfEiPKS3_PKPS3_S6_S8_EEvT0_S9_S9_T1_bT2_lS9_S9_lbT3_lS9_S9_lSA_T4_lS9_S9_l.numbered_sgpr, 29
	.set _ZN9rocsolver6v33100L11gemm_kernelI19rocblas_complex_numIfEiPKS3_PKPS3_S6_S8_EEvT0_S9_S9_T1_bT2_lS9_S9_lbT3_lS9_S9_lSA_T4_lS9_S9_l.num_named_barrier, 0
	.set _ZN9rocsolver6v33100L11gemm_kernelI19rocblas_complex_numIfEiPKS3_PKPS3_S6_S8_EEvT0_S9_S9_T1_bT2_lS9_S9_lbT3_lS9_S9_lSA_T4_lS9_S9_l.private_seg_size, 0
	.set _ZN9rocsolver6v33100L11gemm_kernelI19rocblas_complex_numIfEiPKS3_PKPS3_S6_S8_EEvT0_S9_S9_T1_bT2_lS9_S9_lbT3_lS9_S9_lSA_T4_lS9_S9_l.uses_vcc, 1
	.set _ZN9rocsolver6v33100L11gemm_kernelI19rocblas_complex_numIfEiPKS3_PKPS3_S6_S8_EEvT0_S9_S9_T1_bT2_lS9_S9_lbT3_lS9_S9_lSA_T4_lS9_S9_l.uses_flat_scratch, 0
	.set _ZN9rocsolver6v33100L11gemm_kernelI19rocblas_complex_numIfEiPKS3_PKPS3_S6_S8_EEvT0_S9_S9_T1_bT2_lS9_S9_lbT3_lS9_S9_lSA_T4_lS9_S9_l.has_dyn_sized_stack, 0
	.set _ZN9rocsolver6v33100L11gemm_kernelI19rocblas_complex_numIfEiPKS3_PKPS3_S6_S8_EEvT0_S9_S9_T1_bT2_lS9_S9_lbT3_lS9_S9_lSA_T4_lS9_S9_l.has_recursion, 0
	.set _ZN9rocsolver6v33100L11gemm_kernelI19rocblas_complex_numIfEiPKS3_PKPS3_S6_S8_EEvT0_S9_S9_T1_bT2_lS9_S9_lbT3_lS9_S9_lSA_T4_lS9_S9_l.has_indirect_call, 0
	.section	.AMDGPU.csdata,"",@progbits
; Kernel info:
; codeLenInByte = 776
; TotalNumSgprs: 31
; NumVgprs: 17
; ScratchSize: 0
; MemoryBound: 0
; FloatMode: 240
; IeeeMode: 1
; LDSByteSize: 0 bytes/workgroup (compile time only)
; SGPRBlocks: 0
; VGPRBlocks: 1
; NumSGPRsForWavesPerEU: 31
; NumVGPRsForWavesPerEU: 17
; NamedBarCnt: 0
; Occupancy: 16
; WaveLimiterHint : 1
; COMPUTE_PGM_RSRC2:SCRATCH_EN: 0
; COMPUTE_PGM_RSRC2:USER_SGPR: 2
; COMPUTE_PGM_RSRC2:TRAP_HANDLER: 0
; COMPUTE_PGM_RSRC2:TGID_X_EN: 1
; COMPUTE_PGM_RSRC2:TGID_Y_EN: 1
; COMPUTE_PGM_RSRC2:TGID_Z_EN: 1
; COMPUTE_PGM_RSRC2:TIDIG_COMP_CNT: 1
	.section	.text._ZN9rocsolver6v33100L11gemm_kernelI19rocblas_complex_numIfEiS3_PKPS3_S4_S6_EEvT0_S7_S7_T1_bT2_lS7_S7_lbT3_lS7_S7_lS8_T4_lS7_S7_l,"axG",@progbits,_ZN9rocsolver6v33100L11gemm_kernelI19rocblas_complex_numIfEiS3_PKPS3_S4_S6_EEvT0_S7_S7_T1_bT2_lS7_S7_lbT3_lS7_S7_lS8_T4_lS7_S7_l,comdat
	.globl	_ZN9rocsolver6v33100L11gemm_kernelI19rocblas_complex_numIfEiS3_PKPS3_S4_S6_EEvT0_S7_S7_T1_bT2_lS7_S7_lbT3_lS7_S7_lS8_T4_lS7_S7_l ; -- Begin function _ZN9rocsolver6v33100L11gemm_kernelI19rocblas_complex_numIfEiS3_PKPS3_S4_S6_EEvT0_S7_S7_T1_bT2_lS7_S7_lbT3_lS7_S7_lS8_T4_lS7_S7_l
	.p2align	8
	.type	_ZN9rocsolver6v33100L11gemm_kernelI19rocblas_complex_numIfEiS3_PKPS3_S4_S6_EEvT0_S7_S7_T1_bT2_lS7_S7_lbT3_lS7_S7_lS8_T4_lS7_S7_l,@function
_ZN9rocsolver6v33100L11gemm_kernelI19rocblas_complex_numIfEiS3_PKPS3_S4_S6_EEvT0_S7_S7_T1_bT2_lS7_S7_lbT3_lS7_S7_lS8_T4_lS7_S7_l: ; @_ZN9rocsolver6v33100L11gemm_kernelI19rocblas_complex_numIfEiS3_PKPS3_S4_S6_EEvT0_S7_S7_T1_bT2_lS7_S7_lbT3_lS7_S7_lS8_T4_lS7_S7_l
; %bb.0:
	s_clause 0x1
	s_load_b32 s2, s[0:1], 0x94
	s_load_b128 s[12:15], s[0:1], 0x0
	s_bfe_u32 s5, ttmp6, 0x4000c
	s_bfe_u32 s7, ttmp6, 0x40010
	s_and_b32 s6, ttmp7, 0xffff
	s_add_co_i32 s5, s5, 1
	s_add_co_i32 s7, s7, 1
	s_and_b32 s3, ttmp6, 15
	s_bfe_u32 s8, ttmp6, 0x40004
	s_mul_i32 s5, ttmp9, s5
	s_mul_i32 s7, s6, s7
	s_getreg_b32 s4, hwreg(HW_REG_IB_STS2, 6, 4)
	v_bfe_u32 v2, v0, 10, 10
	v_and_b32_e32 v0, 0x3ff, v0
	s_add_co_i32 s3, s3, s5
	s_add_co_i32 s8, s8, s7
	s_mov_b32 s21, 0
	s_wait_kmcnt 0x0
	s_and_b32 s5, s2, 0xffff
	s_lshr_b32 s2, s2, 16
	s_cmp_eq_u32 s4, 0
	s_cselect_b32 s3, ttmp9, s3
	s_cselect_b32 s6, s6, s8
	v_mad_u32 v1, s3, s5, v0
	v_mad_u32 v3, s6, s2, v2
	s_delay_alu instid0(VALU_DEP_2) | instskip(NEXT) | instid1(VALU_DEP_2)
	v_cmp_gt_i32_e32 vcc_lo, s12, v1
	v_cmp_gt_i32_e64 s2, s13, v3
	s_and_b32 s2, vcc_lo, s2
	s_delay_alu instid0(SALU_CYCLE_1)
	s_and_saveexec_b32 s3, s2
	s_cbranch_execz .LBB16_10
; %bb.1:
	s_clause 0x2
	s_load_b64 s[2:3], s[0:1], 0x10
	s_load_b64 s[12:13], s[0:1], 0x60
	s_load_b128 s[16:19], s[0:1], 0x68
	s_bfe_u32 s5, ttmp6, 0x40014
	s_lshr_b32 s6, ttmp7, 16
	s_add_co_i32 s5, s5, 1
	s_bfe_u32 s7, ttmp6, 0x40008
	s_mul_i32 s5, s6, s5
	s_delay_alu instid0(SALU_CYCLE_1)
	s_add_co_i32 s7, s7, s5
	s_cmp_eq_u32 s4, 0
	s_cselect_b32 s20, s6, s7
	s_cmp_lt_i32 s14, 1
	s_cbranch_scc1 .LBB16_8
; %bb.2:
	s_clause 0x3
	s_load_b128 s[24:27], s[0:1], 0x18
	s_load_b64 s[22:23], s[0:1], 0x28
	s_load_b256 s[4:11], s[0:1], 0x40
	s_load_b32 s28, s[0:1], 0x38
	s_wait_kmcnt 0x0
	s_bitcmp1_b32 s3, 0
	v_dual_mov_b32 v0, 0 :: v_dual_mov_b32 v2, 0
	s_cselect_b32 s3, -1, 0
	s_delay_alu instid0(SALU_CYCLE_1)
	s_xor_b32 s3, s3, -1
	s_load_b64 s[24:25], s[24:25], s20 offset:0x0 scale_offset
	v_mul_lo_u32 v4, v1, s22
	v_mul_lo_u32 v10, v3, s9
	s_bitcmp1_b32 s28, 0
	s_mul_u64 s[10:11], s[10:11], s[20:21]
	s_cselect_b32 s9, -1, 0
	s_lshl_b64 s[10:11], s[10:11], 3
	s_lshl_b64 s[26:27], s[26:27], 3
	;; [unrolled: 1-line block ×3, first 2 shown]
	s_add_nc_u64 s[10:11], s[4:5], s[10:11]
	s_delay_alu instid0(SALU_CYCLE_1)
	s_add_nc_u64 s[6:7], s[10:11], s[6:7]
	s_wait_kmcnt 0x0
	s_add_nc_u64 s[4:5], s[24:25], s[26:27]
	s_branch .LBB16_4
.LBB16_3:                               ;   in Loop: Header=BB16_4 Depth=1
	global_load_b64 v[8:9], v10, s[6:7] scale_offset
	s_add_co_i32 s14, s14, -1
	v_add_nc_u32_e32 v4, s23, v4
	s_cmp_eq_u32 s14, 0
	s_wait_loadcnt_dscnt 0x0
	v_dual_cndmask_b32 v5, v9, -v9, s9 :: v_dual_mul_f32 v9, v7, v8
	s_delay_alu instid0(VALU_DEP_1) | instskip(SKIP_1) | instid1(VALU_DEP_2)
	v_dual_mul_f32 v7, v7, v5 :: v_dual_fmac_f32 v9, v5, v6
	v_add_nc_u32_e32 v10, s8, v10
	v_fma_f32 v5, v8, v6, -v7
	s_delay_alu instid0(VALU_DEP_3) | instskip(NEXT) | instid1(VALU_DEP_2)
	v_add_f32_e32 v0, v0, v9
	v_add_f32_e32 v2, v2, v5
	s_cbranch_scc1 .LBB16_9
.LBB16_4:                               ; =>This Inner Loop Header: Depth=1
	v_ashrrev_i32_e32 v5, 31, v4
	s_and_b32 vcc_lo, exec_lo, s3
	s_mov_b32 s10, -1
                                        ; implicit-def: $vgpr7
	s_delay_alu instid0(VALU_DEP_1)
	v_lshl_add_u64 v[8:9], v[4:5], 3, s[4:5]
	s_cbranch_vccz .LBB16_6
; %bb.5:                                ;   in Loop: Header=BB16_4 Depth=1
	flat_load_b64 v[6:7], v[8:9]
	s_mov_b32 s10, 0
.LBB16_6:                               ;   in Loop: Header=BB16_4 Depth=1
	s_delay_alu instid0(SALU_CYCLE_1)
	s_and_not1_b32 vcc_lo, exec_lo, s10
	s_cbranch_vccnz .LBB16_3
; %bb.7:                                ;   in Loop: Header=BB16_4 Depth=1
	s_wait_loadcnt_dscnt 0x0
	flat_load_b64 v[6:7], v[8:9]
	s_wait_loadcnt_dscnt 0x0
	v_xor_b32_e32 v7, 0x80000000, v7
	s_branch .LBB16_3
.LBB16_8:
	v_dual_mov_b32 v0, 0 :: v_dual_mov_b32 v2, 0
.LBB16_9:
	s_wait_kmcnt 0x0
	s_load_b64 s[4:5], s[16:17], s20 offset:0x0 scale_offset
	s_nop 0
	s_load_b64 s[0:1], s[0:1], 0x78
	v_dual_mov_b32 v6, s2 :: v_dual_mov_b32 v7, s15
	v_mov_b64_e32 v[8:9], s[12:13]
	s_wait_kmcnt 0x0
	v_mul_lo_u32 v1, v1, s0
	s_delay_alu instid0(VALU_DEP_1)
	v_mad_u32 v16, v3, s1, v1
	s_lshl_b64 s[0:1], s[18:19], 3
	v_pk_mul_f32 v[0:1], v[6:7], v[0:1] op_sel_hi:[1,0]
	s_add_nc_u64 s[0:1], s[4:5], s[0:1]
	s_mov_b32 s4, s15
	s_mov_b32 s5, s2
	s_delay_alu instid0(SALU_CYCLE_1)
	v_mov_b64_e32 v[6:7], s[4:5]
	flat_load_b64 v[4:5], v16, s[0:1] scale_offset
	v_pk_fma_f32 v[12:13], v[6:7], v[2:3], v[0:1] op_sel_hi:[1,0,1]
	v_pk_fma_f32 v[0:1], v[6:7], v[2:3], v[0:1] neg_lo:[0,0,1] neg_hi:[0,0,1]
	s_wait_loadcnt_dscnt 0x0
	v_pk_mul_f32 v[10:11], v[8:9], v[4:5] op_sel:[1,1] op_sel_hi:[0,1]
	s_delay_alu instid0(VALU_DEP_1) | instskip(SKIP_1) | instid1(VALU_DEP_2)
	v_pk_fma_f32 v[14:15], v[8:9], v[4:5], v[10:11] op_sel_hi:[1,0,1]
	v_pk_fma_f32 v[2:3], v[8:9], v[4:5], v[10:11] neg_lo:[0,0,1] neg_hi:[0,0,1]
	v_dual_mov_b32 v1, v13 :: v_dual_mov_b32 v3, v15
	s_delay_alu instid0(VALU_DEP_1)
	v_pk_add_f32 v[0:1], v[0:1], v[2:3]
	flat_store_b64 v16, v[0:1], s[0:1] scale_offset
.LBB16_10:
	s_endpgm
	.section	.rodata,"a",@progbits
	.p2align	6, 0x0
	.amdhsa_kernel _ZN9rocsolver6v33100L11gemm_kernelI19rocblas_complex_numIfEiS3_PKPS3_S4_S6_EEvT0_S7_S7_T1_bT2_lS7_S7_lbT3_lS7_S7_lS8_T4_lS7_S7_l
		.amdhsa_group_segment_fixed_size 0
		.amdhsa_private_segment_fixed_size 0
		.amdhsa_kernarg_size 392
		.amdhsa_user_sgpr_count 2
		.amdhsa_user_sgpr_dispatch_ptr 0
		.amdhsa_user_sgpr_queue_ptr 0
		.amdhsa_user_sgpr_kernarg_segment_ptr 1
		.amdhsa_user_sgpr_dispatch_id 0
		.amdhsa_user_sgpr_kernarg_preload_length 0
		.amdhsa_user_sgpr_kernarg_preload_offset 0
		.amdhsa_user_sgpr_private_segment_size 0
		.amdhsa_wavefront_size32 1
		.amdhsa_uses_dynamic_stack 0
		.amdhsa_enable_private_segment 0
		.amdhsa_system_sgpr_workgroup_id_x 1
		.amdhsa_system_sgpr_workgroup_id_y 1
		.amdhsa_system_sgpr_workgroup_id_z 1
		.amdhsa_system_sgpr_workgroup_info 0
		.amdhsa_system_vgpr_workitem_id 1
		.amdhsa_next_free_vgpr 17
		.amdhsa_next_free_sgpr 29
		.amdhsa_named_barrier_count 0
		.amdhsa_reserve_vcc 1
		.amdhsa_float_round_mode_32 0
		.amdhsa_float_round_mode_16_64 0
		.amdhsa_float_denorm_mode_32 3
		.amdhsa_float_denorm_mode_16_64 3
		.amdhsa_fp16_overflow 0
		.amdhsa_memory_ordered 1
		.amdhsa_forward_progress 1
		.amdhsa_inst_pref_size 7
		.amdhsa_round_robin_scheduling 0
		.amdhsa_exception_fp_ieee_invalid_op 0
		.amdhsa_exception_fp_denorm_src 0
		.amdhsa_exception_fp_ieee_div_zero 0
		.amdhsa_exception_fp_ieee_overflow 0
		.amdhsa_exception_fp_ieee_underflow 0
		.amdhsa_exception_fp_ieee_inexact 0
		.amdhsa_exception_int_div_zero 0
	.end_amdhsa_kernel
	.section	.text._ZN9rocsolver6v33100L11gemm_kernelI19rocblas_complex_numIfEiS3_PKPS3_S4_S6_EEvT0_S7_S7_T1_bT2_lS7_S7_lbT3_lS7_S7_lS8_T4_lS7_S7_l,"axG",@progbits,_ZN9rocsolver6v33100L11gemm_kernelI19rocblas_complex_numIfEiS3_PKPS3_S4_S6_EEvT0_S7_S7_T1_bT2_lS7_S7_lbT3_lS7_S7_lS8_T4_lS7_S7_l,comdat
.Lfunc_end16:
	.size	_ZN9rocsolver6v33100L11gemm_kernelI19rocblas_complex_numIfEiS3_PKPS3_S4_S6_EEvT0_S7_S7_T1_bT2_lS7_S7_lbT3_lS7_S7_lS8_T4_lS7_S7_l, .Lfunc_end16-_ZN9rocsolver6v33100L11gemm_kernelI19rocblas_complex_numIfEiS3_PKPS3_S4_S6_EEvT0_S7_S7_T1_bT2_lS7_S7_lbT3_lS7_S7_lS8_T4_lS7_S7_l
                                        ; -- End function
	.set _ZN9rocsolver6v33100L11gemm_kernelI19rocblas_complex_numIfEiS3_PKPS3_S4_S6_EEvT0_S7_S7_T1_bT2_lS7_S7_lbT3_lS7_S7_lS8_T4_lS7_S7_l.num_vgpr, 17
	.set _ZN9rocsolver6v33100L11gemm_kernelI19rocblas_complex_numIfEiS3_PKPS3_S4_S6_EEvT0_S7_S7_T1_bT2_lS7_S7_lbT3_lS7_S7_lS8_T4_lS7_S7_l.num_agpr, 0
	.set _ZN9rocsolver6v33100L11gemm_kernelI19rocblas_complex_numIfEiS3_PKPS3_S4_S6_EEvT0_S7_S7_T1_bT2_lS7_S7_lbT3_lS7_S7_lS8_T4_lS7_S7_l.numbered_sgpr, 29
	.set _ZN9rocsolver6v33100L11gemm_kernelI19rocblas_complex_numIfEiS3_PKPS3_S4_S6_EEvT0_S7_S7_T1_bT2_lS7_S7_lbT3_lS7_S7_lS8_T4_lS7_S7_l.num_named_barrier, 0
	.set _ZN9rocsolver6v33100L11gemm_kernelI19rocblas_complex_numIfEiS3_PKPS3_S4_S6_EEvT0_S7_S7_T1_bT2_lS7_S7_lbT3_lS7_S7_lS8_T4_lS7_S7_l.private_seg_size, 0
	.set _ZN9rocsolver6v33100L11gemm_kernelI19rocblas_complex_numIfEiS3_PKPS3_S4_S6_EEvT0_S7_S7_T1_bT2_lS7_S7_lbT3_lS7_S7_lS8_T4_lS7_S7_l.uses_vcc, 1
	.set _ZN9rocsolver6v33100L11gemm_kernelI19rocblas_complex_numIfEiS3_PKPS3_S4_S6_EEvT0_S7_S7_T1_bT2_lS7_S7_lbT3_lS7_S7_lS8_T4_lS7_S7_l.uses_flat_scratch, 0
	.set _ZN9rocsolver6v33100L11gemm_kernelI19rocblas_complex_numIfEiS3_PKPS3_S4_S6_EEvT0_S7_S7_T1_bT2_lS7_S7_lbT3_lS7_S7_lS8_T4_lS7_S7_l.has_dyn_sized_stack, 0
	.set _ZN9rocsolver6v33100L11gemm_kernelI19rocblas_complex_numIfEiS3_PKPS3_S4_S6_EEvT0_S7_S7_T1_bT2_lS7_S7_lbT3_lS7_S7_lS8_T4_lS7_S7_l.has_recursion, 0
	.set _ZN9rocsolver6v33100L11gemm_kernelI19rocblas_complex_numIfEiS3_PKPS3_S4_S6_EEvT0_S7_S7_T1_bT2_lS7_S7_lbT3_lS7_S7_lS8_T4_lS7_S7_l.has_indirect_call, 0
	.section	.AMDGPU.csdata,"",@progbits
; Kernel info:
; codeLenInByte = 776
; TotalNumSgprs: 31
; NumVgprs: 17
; ScratchSize: 0
; MemoryBound: 0
; FloatMode: 240
; IeeeMode: 1
; LDSByteSize: 0 bytes/workgroup (compile time only)
; SGPRBlocks: 0
; VGPRBlocks: 1
; NumSGPRsForWavesPerEU: 31
; NumVGPRsForWavesPerEU: 17
; NamedBarCnt: 0
; Occupancy: 16
; WaveLimiterHint : 1
; COMPUTE_PGM_RSRC2:SCRATCH_EN: 0
; COMPUTE_PGM_RSRC2:USER_SGPR: 2
; COMPUTE_PGM_RSRC2:TRAP_HANDLER: 0
; COMPUTE_PGM_RSRC2:TGID_X_EN: 1
; COMPUTE_PGM_RSRC2:TGID_Y_EN: 1
; COMPUTE_PGM_RSRC2:TGID_Z_EN: 1
; COMPUTE_PGM_RSRC2:TIDIG_COMP_CNT: 1
	.section	.text._ZN9rocsolver6v33100L16mfma_gemm_kernelI19rocblas_complex_numIfEiPKS3_PKPS3_S8_S6_EEv18rocblas_operation_S9_T0_SA_SA_T1_T2_lSA_SA_lT3_lSA_SA_lSB_T4_lSA_SA_l,"axG",@progbits,_ZN9rocsolver6v33100L16mfma_gemm_kernelI19rocblas_complex_numIfEiPKS3_PKPS3_S8_S6_EEv18rocblas_operation_S9_T0_SA_SA_T1_T2_lSA_SA_lT3_lSA_SA_lSB_T4_lSA_SA_l,comdat
	.globl	_ZN9rocsolver6v33100L16mfma_gemm_kernelI19rocblas_complex_numIfEiPKS3_PKPS3_S8_S6_EEv18rocblas_operation_S9_T0_SA_SA_T1_T2_lSA_SA_lT3_lSA_SA_lSB_T4_lSA_SA_l ; -- Begin function _ZN9rocsolver6v33100L16mfma_gemm_kernelI19rocblas_complex_numIfEiPKS3_PKPS3_S8_S6_EEv18rocblas_operation_S9_T0_SA_SA_T1_T2_lSA_SA_lT3_lSA_SA_lSB_T4_lSA_SA_l
	.p2align	8
	.type	_ZN9rocsolver6v33100L16mfma_gemm_kernelI19rocblas_complex_numIfEiPKS3_PKPS3_S8_S6_EEv18rocblas_operation_S9_T0_SA_SA_T1_T2_lSA_SA_lT3_lSA_SA_lSB_T4_lSA_SA_l,@function
_ZN9rocsolver6v33100L16mfma_gemm_kernelI19rocblas_complex_numIfEiPKS3_PKPS3_S8_S6_EEv18rocblas_operation_S9_T0_SA_SA_T1_T2_lSA_SA_lT3_lSA_SA_lSB_T4_lSA_SA_l: ; @_ZN9rocsolver6v33100L16mfma_gemm_kernelI19rocblas_complex_numIfEiPKS3_PKPS3_S8_S6_EEv18rocblas_operation_S9_T0_SA_SA_T1_T2_lSA_SA_lT3_lSA_SA_lSB_T4_lSA_SA_l
; %bb.0:
	s_endpgm
	.section	.rodata,"a",@progbits
	.p2align	6, 0x0
	.amdhsa_kernel _ZN9rocsolver6v33100L16mfma_gemm_kernelI19rocblas_complex_numIfEiPKS3_PKPS3_S8_S6_EEv18rocblas_operation_S9_T0_SA_SA_T1_T2_lSA_SA_lT3_lSA_SA_lSB_T4_lSA_SA_l
		.amdhsa_group_segment_fixed_size 0
		.amdhsa_private_segment_fixed_size 0
		.amdhsa_kernarg_size 136
		.amdhsa_user_sgpr_count 2
		.amdhsa_user_sgpr_dispatch_ptr 0
		.amdhsa_user_sgpr_queue_ptr 0
		.amdhsa_user_sgpr_kernarg_segment_ptr 1
		.amdhsa_user_sgpr_dispatch_id 0
		.amdhsa_user_sgpr_kernarg_preload_length 0
		.amdhsa_user_sgpr_kernarg_preload_offset 0
		.amdhsa_user_sgpr_private_segment_size 0
		.amdhsa_wavefront_size32 1
		.amdhsa_uses_dynamic_stack 0
		.amdhsa_enable_private_segment 0
		.amdhsa_system_sgpr_workgroup_id_x 1
		.amdhsa_system_sgpr_workgroup_id_y 0
		.amdhsa_system_sgpr_workgroup_id_z 0
		.amdhsa_system_sgpr_workgroup_info 0
		.amdhsa_system_vgpr_workitem_id 0
		.amdhsa_next_free_vgpr 1
		.amdhsa_next_free_sgpr 1
		.amdhsa_named_barrier_count 0
		.amdhsa_reserve_vcc 0
		.amdhsa_float_round_mode_32 0
		.amdhsa_float_round_mode_16_64 0
		.amdhsa_float_denorm_mode_32 3
		.amdhsa_float_denorm_mode_16_64 3
		.amdhsa_fp16_overflow 0
		.amdhsa_memory_ordered 1
		.amdhsa_forward_progress 1
		.amdhsa_inst_pref_size 1
		.amdhsa_round_robin_scheduling 0
		.amdhsa_exception_fp_ieee_invalid_op 0
		.amdhsa_exception_fp_denorm_src 0
		.amdhsa_exception_fp_ieee_div_zero 0
		.amdhsa_exception_fp_ieee_overflow 0
		.amdhsa_exception_fp_ieee_underflow 0
		.amdhsa_exception_fp_ieee_inexact 0
		.amdhsa_exception_int_div_zero 0
	.end_amdhsa_kernel
	.section	.text._ZN9rocsolver6v33100L16mfma_gemm_kernelI19rocblas_complex_numIfEiPKS3_PKPS3_S8_S6_EEv18rocblas_operation_S9_T0_SA_SA_T1_T2_lSA_SA_lT3_lSA_SA_lSB_T4_lSA_SA_l,"axG",@progbits,_ZN9rocsolver6v33100L16mfma_gemm_kernelI19rocblas_complex_numIfEiPKS3_PKPS3_S8_S6_EEv18rocblas_operation_S9_T0_SA_SA_T1_T2_lSA_SA_lT3_lSA_SA_lSB_T4_lSA_SA_l,comdat
.Lfunc_end17:
	.size	_ZN9rocsolver6v33100L16mfma_gemm_kernelI19rocblas_complex_numIfEiPKS3_PKPS3_S8_S6_EEv18rocblas_operation_S9_T0_SA_SA_T1_T2_lSA_SA_lT3_lSA_SA_lSB_T4_lSA_SA_l, .Lfunc_end17-_ZN9rocsolver6v33100L16mfma_gemm_kernelI19rocblas_complex_numIfEiPKS3_PKPS3_S8_S6_EEv18rocblas_operation_S9_T0_SA_SA_T1_T2_lSA_SA_lT3_lSA_SA_lSB_T4_lSA_SA_l
                                        ; -- End function
	.set _ZN9rocsolver6v33100L16mfma_gemm_kernelI19rocblas_complex_numIfEiPKS3_PKPS3_S8_S6_EEv18rocblas_operation_S9_T0_SA_SA_T1_T2_lSA_SA_lT3_lSA_SA_lSB_T4_lSA_SA_l.num_vgpr, 0
	.set _ZN9rocsolver6v33100L16mfma_gemm_kernelI19rocblas_complex_numIfEiPKS3_PKPS3_S8_S6_EEv18rocblas_operation_S9_T0_SA_SA_T1_T2_lSA_SA_lT3_lSA_SA_lSB_T4_lSA_SA_l.num_agpr, 0
	.set _ZN9rocsolver6v33100L16mfma_gemm_kernelI19rocblas_complex_numIfEiPKS3_PKPS3_S8_S6_EEv18rocblas_operation_S9_T0_SA_SA_T1_T2_lSA_SA_lT3_lSA_SA_lSB_T4_lSA_SA_l.numbered_sgpr, 0
	.set _ZN9rocsolver6v33100L16mfma_gemm_kernelI19rocblas_complex_numIfEiPKS3_PKPS3_S8_S6_EEv18rocblas_operation_S9_T0_SA_SA_T1_T2_lSA_SA_lT3_lSA_SA_lSB_T4_lSA_SA_l.num_named_barrier, 0
	.set _ZN9rocsolver6v33100L16mfma_gemm_kernelI19rocblas_complex_numIfEiPKS3_PKPS3_S8_S6_EEv18rocblas_operation_S9_T0_SA_SA_T1_T2_lSA_SA_lT3_lSA_SA_lSB_T4_lSA_SA_l.private_seg_size, 0
	.set _ZN9rocsolver6v33100L16mfma_gemm_kernelI19rocblas_complex_numIfEiPKS3_PKPS3_S8_S6_EEv18rocblas_operation_S9_T0_SA_SA_T1_T2_lSA_SA_lT3_lSA_SA_lSB_T4_lSA_SA_l.uses_vcc, 0
	.set _ZN9rocsolver6v33100L16mfma_gemm_kernelI19rocblas_complex_numIfEiPKS3_PKPS3_S8_S6_EEv18rocblas_operation_S9_T0_SA_SA_T1_T2_lSA_SA_lT3_lSA_SA_lSB_T4_lSA_SA_l.uses_flat_scratch, 0
	.set _ZN9rocsolver6v33100L16mfma_gemm_kernelI19rocblas_complex_numIfEiPKS3_PKPS3_S8_S6_EEv18rocblas_operation_S9_T0_SA_SA_T1_T2_lSA_SA_lT3_lSA_SA_lSB_T4_lSA_SA_l.has_dyn_sized_stack, 0
	.set _ZN9rocsolver6v33100L16mfma_gemm_kernelI19rocblas_complex_numIfEiPKS3_PKPS3_S8_S6_EEv18rocblas_operation_S9_T0_SA_SA_T1_T2_lSA_SA_lT3_lSA_SA_lSB_T4_lSA_SA_l.has_recursion, 0
	.set _ZN9rocsolver6v33100L16mfma_gemm_kernelI19rocblas_complex_numIfEiPKS3_PKPS3_S8_S6_EEv18rocblas_operation_S9_T0_SA_SA_T1_T2_lSA_SA_lT3_lSA_SA_lSB_T4_lSA_SA_l.has_indirect_call, 0
	.section	.AMDGPU.csdata,"",@progbits
; Kernel info:
; codeLenInByte = 4
; TotalNumSgprs: 0
; NumVgprs: 0
; ScratchSize: 0
; MemoryBound: 0
; FloatMode: 240
; IeeeMode: 1
; LDSByteSize: 0 bytes/workgroup (compile time only)
; SGPRBlocks: 0
; VGPRBlocks: 0
; NumSGPRsForWavesPerEU: 1
; NumVGPRsForWavesPerEU: 1
; NamedBarCnt: 0
; Occupancy: 16
; WaveLimiterHint : 0
; COMPUTE_PGM_RSRC2:SCRATCH_EN: 0
; COMPUTE_PGM_RSRC2:USER_SGPR: 2
; COMPUTE_PGM_RSRC2:TRAP_HANDLER: 0
; COMPUTE_PGM_RSRC2:TGID_X_EN: 1
; COMPUTE_PGM_RSRC2:TGID_Y_EN: 0
; COMPUTE_PGM_RSRC2:TGID_Z_EN: 0
; COMPUTE_PGM_RSRC2:TIDIG_COMP_CNT: 0
	.section	.text._ZN9rocsolver6v33100L16mfma_gemm_kernelI19rocblas_complex_numIfEiS3_PKPS3_S6_S4_EEv18rocblas_operation_S7_T0_S8_S8_T1_T2_lS8_S8_lT3_lS8_S8_lS9_T4_lS8_S8_l,"axG",@progbits,_ZN9rocsolver6v33100L16mfma_gemm_kernelI19rocblas_complex_numIfEiS3_PKPS3_S6_S4_EEv18rocblas_operation_S7_T0_S8_S8_T1_T2_lS8_S8_lT3_lS8_S8_lS9_T4_lS8_S8_l,comdat
	.globl	_ZN9rocsolver6v33100L16mfma_gemm_kernelI19rocblas_complex_numIfEiS3_PKPS3_S6_S4_EEv18rocblas_operation_S7_T0_S8_S8_T1_T2_lS8_S8_lT3_lS8_S8_lS9_T4_lS8_S8_l ; -- Begin function _ZN9rocsolver6v33100L16mfma_gemm_kernelI19rocblas_complex_numIfEiS3_PKPS3_S6_S4_EEv18rocblas_operation_S7_T0_S8_S8_T1_T2_lS8_S8_lT3_lS8_S8_lS9_T4_lS8_S8_l
	.p2align	8
	.type	_ZN9rocsolver6v33100L16mfma_gemm_kernelI19rocblas_complex_numIfEiS3_PKPS3_S6_S4_EEv18rocblas_operation_S7_T0_S8_S8_T1_T2_lS8_S8_lT3_lS8_S8_lS9_T4_lS8_S8_l,@function
_ZN9rocsolver6v33100L16mfma_gemm_kernelI19rocblas_complex_numIfEiS3_PKPS3_S6_S4_EEv18rocblas_operation_S7_T0_S8_S8_T1_T2_lS8_S8_lT3_lS8_S8_lS9_T4_lS8_S8_l: ; @_ZN9rocsolver6v33100L16mfma_gemm_kernelI19rocblas_complex_numIfEiS3_PKPS3_S6_S4_EEv18rocblas_operation_S7_T0_S8_S8_T1_T2_lS8_S8_lT3_lS8_S8_lS9_T4_lS8_S8_l
; %bb.0:
	s_endpgm
	.section	.rodata,"a",@progbits
	.p2align	6, 0x0
	.amdhsa_kernel _ZN9rocsolver6v33100L16mfma_gemm_kernelI19rocblas_complex_numIfEiS3_PKPS3_S6_S4_EEv18rocblas_operation_S7_T0_S8_S8_T1_T2_lS8_S8_lT3_lS8_S8_lS9_T4_lS8_S8_l
		.amdhsa_group_segment_fixed_size 0
		.amdhsa_private_segment_fixed_size 0
		.amdhsa_kernarg_size 136
		.amdhsa_user_sgpr_count 2
		.amdhsa_user_sgpr_dispatch_ptr 0
		.amdhsa_user_sgpr_queue_ptr 0
		.amdhsa_user_sgpr_kernarg_segment_ptr 1
		.amdhsa_user_sgpr_dispatch_id 0
		.amdhsa_user_sgpr_kernarg_preload_length 0
		.amdhsa_user_sgpr_kernarg_preload_offset 0
		.amdhsa_user_sgpr_private_segment_size 0
		.amdhsa_wavefront_size32 1
		.amdhsa_uses_dynamic_stack 0
		.amdhsa_enable_private_segment 0
		.amdhsa_system_sgpr_workgroup_id_x 1
		.amdhsa_system_sgpr_workgroup_id_y 0
		.amdhsa_system_sgpr_workgroup_id_z 0
		.amdhsa_system_sgpr_workgroup_info 0
		.amdhsa_system_vgpr_workitem_id 0
		.amdhsa_next_free_vgpr 1
		.amdhsa_next_free_sgpr 1
		.amdhsa_named_barrier_count 0
		.amdhsa_reserve_vcc 0
		.amdhsa_float_round_mode_32 0
		.amdhsa_float_round_mode_16_64 0
		.amdhsa_float_denorm_mode_32 3
		.amdhsa_float_denorm_mode_16_64 3
		.amdhsa_fp16_overflow 0
		.amdhsa_memory_ordered 1
		.amdhsa_forward_progress 1
		.amdhsa_inst_pref_size 1
		.amdhsa_round_robin_scheduling 0
		.amdhsa_exception_fp_ieee_invalid_op 0
		.amdhsa_exception_fp_denorm_src 0
		.amdhsa_exception_fp_ieee_div_zero 0
		.amdhsa_exception_fp_ieee_overflow 0
		.amdhsa_exception_fp_ieee_underflow 0
		.amdhsa_exception_fp_ieee_inexact 0
		.amdhsa_exception_int_div_zero 0
	.end_amdhsa_kernel
	.section	.text._ZN9rocsolver6v33100L16mfma_gemm_kernelI19rocblas_complex_numIfEiS3_PKPS3_S6_S4_EEv18rocblas_operation_S7_T0_S8_S8_T1_T2_lS8_S8_lT3_lS8_S8_lS9_T4_lS8_S8_l,"axG",@progbits,_ZN9rocsolver6v33100L16mfma_gemm_kernelI19rocblas_complex_numIfEiS3_PKPS3_S6_S4_EEv18rocblas_operation_S7_T0_S8_S8_T1_T2_lS8_S8_lT3_lS8_S8_lS9_T4_lS8_S8_l,comdat
.Lfunc_end18:
	.size	_ZN9rocsolver6v33100L16mfma_gemm_kernelI19rocblas_complex_numIfEiS3_PKPS3_S6_S4_EEv18rocblas_operation_S7_T0_S8_S8_T1_T2_lS8_S8_lT3_lS8_S8_lS9_T4_lS8_S8_l, .Lfunc_end18-_ZN9rocsolver6v33100L16mfma_gemm_kernelI19rocblas_complex_numIfEiS3_PKPS3_S6_S4_EEv18rocblas_operation_S7_T0_S8_S8_T1_T2_lS8_S8_lT3_lS8_S8_lS9_T4_lS8_S8_l
                                        ; -- End function
	.set _ZN9rocsolver6v33100L16mfma_gemm_kernelI19rocblas_complex_numIfEiS3_PKPS3_S6_S4_EEv18rocblas_operation_S7_T0_S8_S8_T1_T2_lS8_S8_lT3_lS8_S8_lS9_T4_lS8_S8_l.num_vgpr, 0
	.set _ZN9rocsolver6v33100L16mfma_gemm_kernelI19rocblas_complex_numIfEiS3_PKPS3_S6_S4_EEv18rocblas_operation_S7_T0_S8_S8_T1_T2_lS8_S8_lT3_lS8_S8_lS9_T4_lS8_S8_l.num_agpr, 0
	.set _ZN9rocsolver6v33100L16mfma_gemm_kernelI19rocblas_complex_numIfEiS3_PKPS3_S6_S4_EEv18rocblas_operation_S7_T0_S8_S8_T1_T2_lS8_S8_lT3_lS8_S8_lS9_T4_lS8_S8_l.numbered_sgpr, 0
	.set _ZN9rocsolver6v33100L16mfma_gemm_kernelI19rocblas_complex_numIfEiS3_PKPS3_S6_S4_EEv18rocblas_operation_S7_T0_S8_S8_T1_T2_lS8_S8_lT3_lS8_S8_lS9_T4_lS8_S8_l.num_named_barrier, 0
	.set _ZN9rocsolver6v33100L16mfma_gemm_kernelI19rocblas_complex_numIfEiS3_PKPS3_S6_S4_EEv18rocblas_operation_S7_T0_S8_S8_T1_T2_lS8_S8_lT3_lS8_S8_lS9_T4_lS8_S8_l.private_seg_size, 0
	.set _ZN9rocsolver6v33100L16mfma_gemm_kernelI19rocblas_complex_numIfEiS3_PKPS3_S6_S4_EEv18rocblas_operation_S7_T0_S8_S8_T1_T2_lS8_S8_lT3_lS8_S8_lS9_T4_lS8_S8_l.uses_vcc, 0
	.set _ZN9rocsolver6v33100L16mfma_gemm_kernelI19rocblas_complex_numIfEiS3_PKPS3_S6_S4_EEv18rocblas_operation_S7_T0_S8_S8_T1_T2_lS8_S8_lT3_lS8_S8_lS9_T4_lS8_S8_l.uses_flat_scratch, 0
	.set _ZN9rocsolver6v33100L16mfma_gemm_kernelI19rocblas_complex_numIfEiS3_PKPS3_S6_S4_EEv18rocblas_operation_S7_T0_S8_S8_T1_T2_lS8_S8_lT3_lS8_S8_lS9_T4_lS8_S8_l.has_dyn_sized_stack, 0
	.set _ZN9rocsolver6v33100L16mfma_gemm_kernelI19rocblas_complex_numIfEiS3_PKPS3_S6_S4_EEv18rocblas_operation_S7_T0_S8_S8_T1_T2_lS8_S8_lT3_lS8_S8_lS9_T4_lS8_S8_l.has_recursion, 0
	.set _ZN9rocsolver6v33100L16mfma_gemm_kernelI19rocblas_complex_numIfEiS3_PKPS3_S6_S4_EEv18rocblas_operation_S7_T0_S8_S8_T1_T2_lS8_S8_lT3_lS8_S8_lS9_T4_lS8_S8_l.has_indirect_call, 0
	.section	.AMDGPU.csdata,"",@progbits
; Kernel info:
; codeLenInByte = 4
; TotalNumSgprs: 0
; NumVgprs: 0
; ScratchSize: 0
; MemoryBound: 0
; FloatMode: 240
; IeeeMode: 1
; LDSByteSize: 0 bytes/workgroup (compile time only)
; SGPRBlocks: 0
; VGPRBlocks: 0
; NumSGPRsForWavesPerEU: 1
; NumVGPRsForWavesPerEU: 1
; NamedBarCnt: 0
; Occupancy: 16
; WaveLimiterHint : 0
; COMPUTE_PGM_RSRC2:SCRATCH_EN: 0
; COMPUTE_PGM_RSRC2:USER_SGPR: 2
; COMPUTE_PGM_RSRC2:TRAP_HANDLER: 0
; COMPUTE_PGM_RSRC2:TGID_X_EN: 1
; COMPUTE_PGM_RSRC2:TGID_Y_EN: 0
; COMPUTE_PGM_RSRC2:TGID_Z_EN: 0
; COMPUTE_PGM_RSRC2:TIDIG_COMP_CNT: 0
	.section	.text._ZN9rocsolver6v33100L11gemm_kernelI19rocblas_complex_numIfEiPKS3_PKPS3_S8_S6_EEvT0_S9_S9_T1_bT2_lS9_S9_lbT3_lS9_S9_lSA_T4_lS9_S9_l,"axG",@progbits,_ZN9rocsolver6v33100L11gemm_kernelI19rocblas_complex_numIfEiPKS3_PKPS3_S8_S6_EEvT0_S9_S9_T1_bT2_lS9_S9_lbT3_lS9_S9_lSA_T4_lS9_S9_l,comdat
	.globl	_ZN9rocsolver6v33100L11gemm_kernelI19rocblas_complex_numIfEiPKS3_PKPS3_S8_S6_EEvT0_S9_S9_T1_bT2_lS9_S9_lbT3_lS9_S9_lSA_T4_lS9_S9_l ; -- Begin function _ZN9rocsolver6v33100L11gemm_kernelI19rocblas_complex_numIfEiPKS3_PKPS3_S8_S6_EEvT0_S9_S9_T1_bT2_lS9_S9_lbT3_lS9_S9_lSA_T4_lS9_S9_l
	.p2align	8
	.type	_ZN9rocsolver6v33100L11gemm_kernelI19rocblas_complex_numIfEiPKS3_PKPS3_S8_S6_EEvT0_S9_S9_T1_bT2_lS9_S9_lbT3_lS9_S9_lSA_T4_lS9_S9_l,@function
_ZN9rocsolver6v33100L11gemm_kernelI19rocblas_complex_numIfEiPKS3_PKPS3_S8_S6_EEvT0_S9_S9_T1_bT2_lS9_S9_lbT3_lS9_S9_lSA_T4_lS9_S9_l: ; @_ZN9rocsolver6v33100L11gemm_kernelI19rocblas_complex_numIfEiPKS3_PKPS3_S8_S6_EEvT0_S9_S9_T1_bT2_lS9_S9_lbT3_lS9_S9_lSA_T4_lS9_S9_l
; %bb.0:
	s_clause 0x1
	s_load_b32 s2, s[0:1], 0x9c
	s_load_b96 s[8:10], s[0:1], 0x0
	s_bfe_u32 s4, ttmp6, 0x4000c
	s_bfe_u32 s6, ttmp6, 0x40010
	s_and_b32 s5, ttmp7, 0xffff
	s_add_co_i32 s4, s4, 1
	s_add_co_i32 s6, s6, 1
	s_and_b32 s3, ttmp6, 15
	s_bfe_u32 s7, ttmp6, 0x40004
	s_mul_i32 s4, ttmp9, s4
	s_mul_i32 s6, s5, s6
	s_getreg_b32 s11, hwreg(HW_REG_IB_STS2, 6, 4)
	v_bfe_u32 v2, v0, 10, 10
	v_and_b32_e32 v0, 0x3ff, v0
	s_add_co_i32 s3, s3, s4
	s_add_co_i32 s7, s7, s6
	s_wait_kmcnt 0x0
	s_and_b32 s4, s2, 0xffff
	s_lshr_b32 s2, s2, 16
	s_cmp_eq_u32 s11, 0
	s_cselect_b32 s3, ttmp9, s3
	s_cselect_b32 s5, s5, s7
	v_mad_u32 v1, s3, s4, v0
	v_mad_u32 v3, s5, s2, v2
	s_mov_b32 s3, 0
	s_delay_alu instid0(VALU_DEP_2) | instskip(NEXT) | instid1(VALU_DEP_2)
	v_cmp_gt_i32_e32 vcc_lo, s8, v1
	v_cmp_gt_i32_e64 s2, s9, v3
	s_and_b32 s2, vcc_lo, s2
	s_delay_alu instid0(SALU_CYCLE_1)
	s_and_saveexec_b32 s4, s2
	s_cbranch_execz .LBB19_10
; %bb.1:
	s_clause 0x2
	s_load_b64 s[16:17], s[0:1], 0x10
	s_load_b128 s[4:7], s[0:1], 0x68
	s_load_b64 s[12:13], s[0:1], 0x78
	s_bfe_u32 s2, ttmp6, 0x40014
	s_wait_kmcnt 0x0
	s_load_b64 s[14:15], s[16:17], 0x0
	s_load_b64 s[8:9], s[4:5], 0x0
	s_wait_xcnt 0x0
	s_lshr_b32 s4, ttmp7, 16
	s_add_co_i32 s2, s2, 1
	s_bfe_u32 s5, ttmp6, 0x40008
	s_mul_i32 s2, s4, s2
	s_delay_alu instid0(SALU_CYCLE_1)
	s_add_co_i32 s5, s5, s2
	s_cmp_eq_u32 s11, 0
	s_cselect_b32 s2, s4, s5
	s_cmp_lt_i32 s10, 1
	s_cbranch_scc1 .LBB19_8
; %bb.2:
	s_clause 0x5
	s_load_b128 s[20:23], s[0:1], 0x20
	s_load_b128 s[24:27], s[0:1], 0x48
	s_load_b32 s11, s[0:1], 0x18
	s_load_b64 s[4:5], s[0:1], 0x30
	s_load_b64 s[16:17], s[0:1], 0x58
	s_load_b32 s30, s[0:1], 0x40
	v_dual_mov_b32 v0, 0 :: v_dual_mov_b32 v2, 0
	s_wait_kmcnt 0x0
	s_load_b64 s[18:19], s[20:21], s2 offset:0x0 scale_offset
	s_load_b64 s[28:29], s[24:25], s2 offset:0x0 scale_offset
	s_bitcmp1_b32 s11, 0
	v_mul_lo_u32 v4, v1, s4
	v_mul_lo_u32 v10, v3, s17
	s_cselect_b32 s4, -1, 0
	s_delay_alu instid0(SALU_CYCLE_1)
	s_xor_b32 s4, s4, -1
	s_bitcmp1_b32 s30, 0
	s_cselect_b32 s11, -1, 0
	s_wait_xcnt 0x0
	s_lshl_b64 s[20:21], s[22:23], 3
	s_lshl_b64 s[22:23], s[26:27], 3
	s_wait_kmcnt 0x0
	s_add_nc_u64 s[18:19], s[18:19], s[20:21]
	s_add_nc_u64 s[20:21], s[28:29], s[22:23]
	s_branch .LBB19_4
.LBB19_3:                               ;   in Loop: Header=BB19_4 Depth=1
	flat_load_b64 v[8:9], v10, s[20:21] scale_offset
	s_add_co_i32 s10, s10, -1
	v_add_nc_u32_e32 v4, s5, v4
	s_cmp_eq_u32 s10, 0
	s_wait_loadcnt_dscnt 0x0
	v_dual_cndmask_b32 v5, v9, -v9, s11 :: v_dual_mul_f32 v9, v7, v8
	s_delay_alu instid0(VALU_DEP_1) | instskip(SKIP_1) | instid1(VALU_DEP_2)
	v_dual_mul_f32 v7, v7, v5 :: v_dual_fmac_f32 v9, v5, v6
	v_add_nc_u32_e32 v10, s16, v10
	v_fma_f32 v5, v8, v6, -v7
	s_delay_alu instid0(VALU_DEP_3) | instskip(NEXT) | instid1(VALU_DEP_2)
	v_add_f32_e32 v0, v0, v9
	v_add_f32_e32 v2, v2, v5
	s_cbranch_scc1 .LBB19_9
.LBB19_4:                               ; =>This Inner Loop Header: Depth=1
	v_ashrrev_i32_e32 v5, 31, v4
	s_and_b32 vcc_lo, exec_lo, s4
	s_mov_b32 s17, -1
                                        ; implicit-def: $vgpr7
	s_delay_alu instid0(VALU_DEP_1)
	v_lshl_add_u64 v[8:9], v[4:5], 3, s[18:19]
	s_cbranch_vccz .LBB19_6
; %bb.5:                                ;   in Loop: Header=BB19_4 Depth=1
	flat_load_b64 v[6:7], v[8:9]
	s_mov_b32 s17, 0
.LBB19_6:                               ;   in Loop: Header=BB19_4 Depth=1
	s_delay_alu instid0(SALU_CYCLE_1)
	s_and_not1_b32 vcc_lo, exec_lo, s17
	s_cbranch_vccnz .LBB19_3
; %bb.7:                                ;   in Loop: Header=BB19_4 Depth=1
	s_wait_loadcnt_dscnt 0x0
	flat_load_b64 v[6:7], v[8:9]
	s_wait_loadcnt_dscnt 0x0
	v_xor_b32_e32 v7, 0x80000000, v7
	s_branch .LBB19_3
.LBB19_8:
	v_dual_mov_b32 v0, 0 :: v_dual_mov_b32 v2, 0
.LBB19_9:
	s_load_b128 s[16:19], s[0:1], 0x80
	s_wait_kmcnt 0x0
	v_mov_b64_e32 v[6:7], s[14:15]
	v_mov_b64_e32 v[8:9], s[8:9]
	v_mul_lo_u32 v1, v1, s16
	s_mul_u64 s[0:1], s[18:19], s[2:3]
	s_lshl_b64 s[2:3], s[12:13], 3
	s_lshl_b64 s[0:1], s[0:1], 3
	s_delay_alu instid0(SALU_CYCLE_1) | instskip(NEXT) | instid1(SALU_CYCLE_1)
	s_add_nc_u64 s[0:1], s[6:7], s[0:1]
	s_add_nc_u64 s[0:1], s[0:1], s[2:3]
	s_delay_alu instid0(VALU_DEP_1) | instskip(SKIP_1) | instid1(VALU_DEP_1)
	v_mad_u32 v16, v3, s17, v1
	v_pk_mul_f32 v[0:1], v[6:7], v[0:1] op_sel:[1,0] op_sel_hi:[0,0]
	v_pk_fma_f32 v[12:13], v[6:7], v[2:3], v[0:1] op_sel_hi:[1,0,1]
	v_pk_fma_f32 v[0:1], v[6:7], v[2:3], v[0:1] neg_lo:[0,0,1] neg_hi:[0,0,1]
	global_load_b64 v[4:5], v16, s[0:1] scale_offset
	s_wait_loadcnt 0x0
	v_pk_mul_f32 v[10:11], v[8:9], v[4:5] op_sel:[1,1] op_sel_hi:[0,1]
	s_delay_alu instid0(VALU_DEP_1) | instskip(SKIP_1) | instid1(VALU_DEP_2)
	v_pk_fma_f32 v[14:15], v[8:9], v[4:5], v[10:11] op_sel_hi:[1,0,1]
	v_pk_fma_f32 v[2:3], v[8:9], v[4:5], v[10:11] neg_lo:[0,0,1] neg_hi:[0,0,1]
	v_dual_mov_b32 v1, v13 :: v_dual_mov_b32 v3, v15
	s_delay_alu instid0(VALU_DEP_1)
	v_pk_add_f32 v[0:1], v[0:1], v[2:3]
	global_store_b64 v16, v[0:1], s[0:1] scale_offset
.LBB19_10:
	s_endpgm
	.section	.rodata,"a",@progbits
	.p2align	6, 0x0
	.amdhsa_kernel _ZN9rocsolver6v33100L11gemm_kernelI19rocblas_complex_numIfEiPKS3_PKPS3_S8_S6_EEvT0_S9_S9_T1_bT2_lS9_S9_lbT3_lS9_S9_lSA_T4_lS9_S9_l
		.amdhsa_group_segment_fixed_size 0
		.amdhsa_private_segment_fixed_size 0
		.amdhsa_kernarg_size 400
		.amdhsa_user_sgpr_count 2
		.amdhsa_user_sgpr_dispatch_ptr 0
		.amdhsa_user_sgpr_queue_ptr 0
		.amdhsa_user_sgpr_kernarg_segment_ptr 1
		.amdhsa_user_sgpr_dispatch_id 0
		.amdhsa_user_sgpr_kernarg_preload_length 0
		.amdhsa_user_sgpr_kernarg_preload_offset 0
		.amdhsa_user_sgpr_private_segment_size 0
		.amdhsa_wavefront_size32 1
		.amdhsa_uses_dynamic_stack 0
		.amdhsa_enable_private_segment 0
		.amdhsa_system_sgpr_workgroup_id_x 1
		.amdhsa_system_sgpr_workgroup_id_y 1
		.amdhsa_system_sgpr_workgroup_id_z 1
		.amdhsa_system_sgpr_workgroup_info 0
		.amdhsa_system_vgpr_workitem_id 1
		.amdhsa_next_free_vgpr 17
		.amdhsa_next_free_sgpr 31
		.amdhsa_named_barrier_count 0
		.amdhsa_reserve_vcc 1
		.amdhsa_float_round_mode_32 0
		.amdhsa_float_round_mode_16_64 0
		.amdhsa_float_denorm_mode_32 3
		.amdhsa_float_denorm_mode_16_64 3
		.amdhsa_fp16_overflow 0
		.amdhsa_memory_ordered 1
		.amdhsa_forward_progress 1
		.amdhsa_inst_pref_size 7
		.amdhsa_round_robin_scheduling 0
		.amdhsa_exception_fp_ieee_invalid_op 0
		.amdhsa_exception_fp_denorm_src 0
		.amdhsa_exception_fp_ieee_div_zero 0
		.amdhsa_exception_fp_ieee_overflow 0
		.amdhsa_exception_fp_ieee_underflow 0
		.amdhsa_exception_fp_ieee_inexact 0
		.amdhsa_exception_int_div_zero 0
	.end_amdhsa_kernel
	.section	.text._ZN9rocsolver6v33100L11gemm_kernelI19rocblas_complex_numIfEiPKS3_PKPS3_S8_S6_EEvT0_S9_S9_T1_bT2_lS9_S9_lbT3_lS9_S9_lSA_T4_lS9_S9_l,"axG",@progbits,_ZN9rocsolver6v33100L11gemm_kernelI19rocblas_complex_numIfEiPKS3_PKPS3_S8_S6_EEvT0_S9_S9_T1_bT2_lS9_S9_lbT3_lS9_S9_lSA_T4_lS9_S9_l,comdat
.Lfunc_end19:
	.size	_ZN9rocsolver6v33100L11gemm_kernelI19rocblas_complex_numIfEiPKS3_PKPS3_S8_S6_EEvT0_S9_S9_T1_bT2_lS9_S9_lbT3_lS9_S9_lSA_T4_lS9_S9_l, .Lfunc_end19-_ZN9rocsolver6v33100L11gemm_kernelI19rocblas_complex_numIfEiPKS3_PKPS3_S8_S6_EEvT0_S9_S9_T1_bT2_lS9_S9_lbT3_lS9_S9_lSA_T4_lS9_S9_l
                                        ; -- End function
	.set _ZN9rocsolver6v33100L11gemm_kernelI19rocblas_complex_numIfEiPKS3_PKPS3_S8_S6_EEvT0_S9_S9_T1_bT2_lS9_S9_lbT3_lS9_S9_lSA_T4_lS9_S9_l.num_vgpr, 17
	.set _ZN9rocsolver6v33100L11gemm_kernelI19rocblas_complex_numIfEiPKS3_PKPS3_S8_S6_EEvT0_S9_S9_T1_bT2_lS9_S9_lbT3_lS9_S9_lSA_T4_lS9_S9_l.num_agpr, 0
	.set _ZN9rocsolver6v33100L11gemm_kernelI19rocblas_complex_numIfEiPKS3_PKPS3_S8_S6_EEvT0_S9_S9_T1_bT2_lS9_S9_lbT3_lS9_S9_lSA_T4_lS9_S9_l.numbered_sgpr, 31
	.set _ZN9rocsolver6v33100L11gemm_kernelI19rocblas_complex_numIfEiPKS3_PKPS3_S8_S6_EEvT0_S9_S9_T1_bT2_lS9_S9_lbT3_lS9_S9_lSA_T4_lS9_S9_l.num_named_barrier, 0
	.set _ZN9rocsolver6v33100L11gemm_kernelI19rocblas_complex_numIfEiPKS3_PKPS3_S8_S6_EEvT0_S9_S9_T1_bT2_lS9_S9_lbT3_lS9_S9_lSA_T4_lS9_S9_l.private_seg_size, 0
	.set _ZN9rocsolver6v33100L11gemm_kernelI19rocblas_complex_numIfEiPKS3_PKPS3_S8_S6_EEvT0_S9_S9_T1_bT2_lS9_S9_lbT3_lS9_S9_lSA_T4_lS9_S9_l.uses_vcc, 1
	.set _ZN9rocsolver6v33100L11gemm_kernelI19rocblas_complex_numIfEiPKS3_PKPS3_S8_S6_EEvT0_S9_S9_T1_bT2_lS9_S9_lbT3_lS9_S9_lSA_T4_lS9_S9_l.uses_flat_scratch, 0
	.set _ZN9rocsolver6v33100L11gemm_kernelI19rocblas_complex_numIfEiPKS3_PKPS3_S8_S6_EEvT0_S9_S9_T1_bT2_lS9_S9_lbT3_lS9_S9_lSA_T4_lS9_S9_l.has_dyn_sized_stack, 0
	.set _ZN9rocsolver6v33100L11gemm_kernelI19rocblas_complex_numIfEiPKS3_PKPS3_S8_S6_EEvT0_S9_S9_T1_bT2_lS9_S9_lbT3_lS9_S9_lSA_T4_lS9_S9_l.has_recursion, 0
	.set _ZN9rocsolver6v33100L11gemm_kernelI19rocblas_complex_numIfEiPKS3_PKPS3_S8_S6_EEvT0_S9_S9_T1_bT2_lS9_S9_lbT3_lS9_S9_lSA_T4_lS9_S9_l.has_indirect_call, 0
	.section	.AMDGPU.csdata,"",@progbits
; Kernel info:
; codeLenInByte = 792
; TotalNumSgprs: 33
; NumVgprs: 17
; ScratchSize: 0
; MemoryBound: 0
; FloatMode: 240
; IeeeMode: 1
; LDSByteSize: 0 bytes/workgroup (compile time only)
; SGPRBlocks: 0
; VGPRBlocks: 1
; NumSGPRsForWavesPerEU: 33
; NumVGPRsForWavesPerEU: 17
; NamedBarCnt: 0
; Occupancy: 16
; WaveLimiterHint : 1
; COMPUTE_PGM_RSRC2:SCRATCH_EN: 0
; COMPUTE_PGM_RSRC2:USER_SGPR: 2
; COMPUTE_PGM_RSRC2:TRAP_HANDLER: 0
; COMPUTE_PGM_RSRC2:TGID_X_EN: 1
; COMPUTE_PGM_RSRC2:TGID_Y_EN: 1
; COMPUTE_PGM_RSRC2:TGID_Z_EN: 1
; COMPUTE_PGM_RSRC2:TIDIG_COMP_CNT: 1
	.section	.text._ZN9rocsolver6v33100L11gemm_kernelI19rocblas_complex_numIfEiS3_PKPS3_S6_S4_EEvT0_S7_S7_T1_bT2_lS7_S7_lbT3_lS7_S7_lS8_T4_lS7_S7_l,"axG",@progbits,_ZN9rocsolver6v33100L11gemm_kernelI19rocblas_complex_numIfEiS3_PKPS3_S6_S4_EEvT0_S7_S7_T1_bT2_lS7_S7_lbT3_lS7_S7_lS8_T4_lS7_S7_l,comdat
	.globl	_ZN9rocsolver6v33100L11gemm_kernelI19rocblas_complex_numIfEiS3_PKPS3_S6_S4_EEvT0_S7_S7_T1_bT2_lS7_S7_lbT3_lS7_S7_lS8_T4_lS7_S7_l ; -- Begin function _ZN9rocsolver6v33100L11gemm_kernelI19rocblas_complex_numIfEiS3_PKPS3_S6_S4_EEvT0_S7_S7_T1_bT2_lS7_S7_lbT3_lS7_S7_lS8_T4_lS7_S7_l
	.p2align	8
	.type	_ZN9rocsolver6v33100L11gemm_kernelI19rocblas_complex_numIfEiS3_PKPS3_S6_S4_EEvT0_S7_S7_T1_bT2_lS7_S7_lbT3_lS7_S7_lS8_T4_lS7_S7_l,@function
_ZN9rocsolver6v33100L11gemm_kernelI19rocblas_complex_numIfEiS3_PKPS3_S6_S4_EEvT0_S7_S7_T1_bT2_lS7_S7_lbT3_lS7_S7_lS8_T4_lS7_S7_l: ; @_ZN9rocsolver6v33100L11gemm_kernelI19rocblas_complex_numIfEiS3_PKPS3_S6_S4_EEvT0_S7_S7_T1_bT2_lS7_S7_lbT3_lS7_S7_lS8_T4_lS7_S7_l
; %bb.0:
	s_clause 0x1
	s_load_b32 s2, s[0:1], 0x94
	s_load_b128 s[4:7], s[0:1], 0x0
	s_bfe_u32 s9, ttmp6, 0x4000c
	s_bfe_u32 s11, ttmp6, 0x40010
	s_and_b32 s10, ttmp7, 0xffff
	s_add_co_i32 s9, s9, 1
	s_add_co_i32 s11, s11, 1
	s_and_b32 s3, ttmp6, 15
	s_bfe_u32 s12, ttmp6, 0x40004
	s_mul_i32 s9, ttmp9, s9
	s_mul_i32 s11, s10, s11
	s_getreg_b32 s8, hwreg(HW_REG_IB_STS2, 6, 4)
	v_bfe_u32 v2, v0, 10, 10
	v_and_b32_e32 v0, 0x3ff, v0
	s_add_co_i32 s3, s3, s9
	s_add_co_i32 s12, s12, s11
	s_wait_kmcnt 0x0
	s_and_b32 s9, s2, 0xffff
	s_lshr_b32 s2, s2, 16
	s_cmp_eq_u32 s8, 0
	s_cselect_b32 s3, ttmp9, s3
	s_cselect_b32 s10, s10, s12
	v_mad_u32 v1, s3, s9, v0
	v_mad_u32 v3, s10, s2, v2
	s_mov_b32 s9, 0
	s_delay_alu instid0(VALU_DEP_2) | instskip(NEXT) | instid1(VALU_DEP_2)
	v_cmp_gt_i32_e32 vcc_lo, s4, v1
	v_cmp_gt_i32_e64 s2, s5, v3
	s_and_b32 s2, vcc_lo, s2
	s_delay_alu instid0(SALU_CYCLE_1)
	s_and_saveexec_b32 s3, s2
	s_cbranch_execz .LBB20_10
; %bb.1:
	s_clause 0x1
	s_load_b64 s[2:3], s[0:1], 0x10
	s_load_b64 s[4:5], s[0:1], 0x60
	s_bfe_u32 s10, ttmp6, 0x40014
	s_lshr_b32 s11, ttmp7, 16
	s_add_co_i32 s10, s10, 1
	s_bfe_u32 s12, ttmp6, 0x40008
	s_mul_i32 s10, s11, s10
	s_delay_alu instid0(SALU_CYCLE_1)
	s_add_co_i32 s12, s12, s10
	s_cmp_eq_u32 s8, 0
	s_cselect_b32 s8, s11, s12
	s_cmp_lt_i32 s6, 1
	s_cbranch_scc1 .LBB20_8
; %bb.2:
	s_clause 0x4
	s_load_b128 s[16:19], s[0:1], 0x18
	s_load_b128 s[20:23], s[0:1], 0x40
	s_load_b64 s[10:11], s[0:1], 0x28
	s_load_b64 s[12:13], s[0:1], 0x50
	s_load_b32 s26, s[0:1], 0x38
	s_wait_kmcnt 0x0
	s_bitcmp1_b32 s3, 0
	v_dual_mov_b32 v0, 0 :: v_dual_mov_b32 v2, 0
	s_cselect_b32 s3, -1, 0
	s_load_b64 s[14:15], s[16:17], s8 offset:0x0 scale_offset
	s_load_b64 s[24:25], s[20:21], s8 offset:0x0 scale_offset
	v_mul_lo_u32 v4, v1, s10
	v_mul_lo_u32 v10, v3, s13
	s_xor_b32 s3, s3, -1
	s_bitcmp1_b32 s26, 0
	s_cselect_b32 s10, -1, 0
	s_wait_xcnt 0x0
	s_lshl_b64 s[16:17], s[18:19], 3
	s_lshl_b64 s[18:19], s[22:23], 3
	s_wait_kmcnt 0x0
	s_add_nc_u64 s[14:15], s[14:15], s[16:17]
	s_add_nc_u64 s[16:17], s[24:25], s[18:19]
	s_branch .LBB20_4
.LBB20_3:                               ;   in Loop: Header=BB20_4 Depth=1
	flat_load_b64 v[8:9], v10, s[16:17] scale_offset
	s_add_co_i32 s6, s6, -1
	v_add_nc_u32_e32 v4, s11, v4
	s_cmp_eq_u32 s6, 0
	s_wait_loadcnt_dscnt 0x0
	v_dual_cndmask_b32 v5, v9, -v9, s10 :: v_dual_mul_f32 v9, v7, v8
	s_delay_alu instid0(VALU_DEP_1) | instskip(SKIP_1) | instid1(VALU_DEP_2)
	v_dual_mul_f32 v7, v7, v5 :: v_dual_fmac_f32 v9, v5, v6
	v_add_nc_u32_e32 v10, s12, v10
	v_fma_f32 v5, v8, v6, -v7
	s_delay_alu instid0(VALU_DEP_3) | instskip(NEXT) | instid1(VALU_DEP_2)
	v_add_f32_e32 v0, v0, v9
	v_add_f32_e32 v2, v2, v5
	s_cbranch_scc1 .LBB20_9
.LBB20_4:                               ; =>This Inner Loop Header: Depth=1
	v_ashrrev_i32_e32 v5, 31, v4
	s_and_b32 vcc_lo, exec_lo, s3
	s_mov_b32 s13, -1
                                        ; implicit-def: $vgpr7
	s_delay_alu instid0(VALU_DEP_1)
	v_lshl_add_u64 v[8:9], v[4:5], 3, s[14:15]
	s_cbranch_vccz .LBB20_6
; %bb.5:                                ;   in Loop: Header=BB20_4 Depth=1
	flat_load_b64 v[6:7], v[8:9]
	s_mov_b32 s13, 0
.LBB20_6:                               ;   in Loop: Header=BB20_4 Depth=1
	s_delay_alu instid0(SALU_CYCLE_1)
	s_and_not1_b32 vcc_lo, exec_lo, s13
	s_cbranch_vccnz .LBB20_3
; %bb.7:                                ;   in Loop: Header=BB20_4 Depth=1
	s_wait_loadcnt_dscnt 0x0
	flat_load_b64 v[6:7], v[8:9]
	s_wait_loadcnt_dscnt 0x0
	v_xor_b32_e32 v7, 0x80000000, v7
	s_branch .LBB20_3
.LBB20_8:
	v_dual_mov_b32 v0, 0 :: v_dual_mov_b32 v2, 0
.LBB20_9:
	s_load_b256 s[12:19], s[0:1], 0x68
	s_wait_kmcnt 0x0
	v_dual_mov_b32 v6, s2 :: v_dual_mov_b32 v7, s7
	v_mov_b64_e32 v[8:9], s[4:5]
	s_mov_b32 s6, s7
	s_mov_b32 s7, s2
	v_mul_lo_u32 v1, v1, s16
	s_mul_u64 s[0:1], s[18:19], s[8:9]
	s_lshl_b64 s[8:9], s[14:15], 3
	s_lshl_b64 s[0:1], s[0:1], 3
	s_delay_alu instid0(SALU_CYCLE_1) | instskip(NEXT) | instid1(SALU_CYCLE_1)
	s_add_nc_u64 s[0:1], s[12:13], s[0:1]
	s_add_nc_u64 s[0:1], s[0:1], s[8:9]
	s_delay_alu instid0(VALU_DEP_1) | instskip(SKIP_2) | instid1(VALU_DEP_1)
	v_mad_u32 v16, v3, s17, v1
	v_pk_mul_f32 v[0:1], v[6:7], v[0:1] op_sel_hi:[1,0]
	v_mov_b64_e32 v[6:7], s[6:7]
	v_pk_fma_f32 v[12:13], v[6:7], v[2:3], v[0:1] op_sel_hi:[1,0,1]
	v_pk_fma_f32 v[0:1], v[6:7], v[2:3], v[0:1] neg_lo:[0,0,1] neg_hi:[0,0,1]
	global_load_b64 v[4:5], v16, s[0:1] scale_offset
	s_wait_loadcnt 0x0
	v_pk_mul_f32 v[10:11], v[8:9], v[4:5] op_sel:[1,1] op_sel_hi:[0,1]
	s_delay_alu instid0(VALU_DEP_1) | instskip(SKIP_1) | instid1(VALU_DEP_2)
	v_pk_fma_f32 v[14:15], v[8:9], v[4:5], v[10:11] op_sel_hi:[1,0,1]
	v_pk_fma_f32 v[2:3], v[8:9], v[4:5], v[10:11] neg_lo:[0,0,1] neg_hi:[0,0,1]
	v_dual_mov_b32 v1, v13 :: v_dual_mov_b32 v3, v15
	s_delay_alu instid0(VALU_DEP_1)
	v_pk_add_f32 v[0:1], v[0:1], v[2:3]
	global_store_b64 v16, v[0:1], s[0:1] scale_offset
.LBB20_10:
	s_endpgm
	.section	.rodata,"a",@progbits
	.p2align	6, 0x0
	.amdhsa_kernel _ZN9rocsolver6v33100L11gemm_kernelI19rocblas_complex_numIfEiS3_PKPS3_S6_S4_EEvT0_S7_S7_T1_bT2_lS7_S7_lbT3_lS7_S7_lS8_T4_lS7_S7_l
		.amdhsa_group_segment_fixed_size 0
		.amdhsa_private_segment_fixed_size 0
		.amdhsa_kernarg_size 392
		.amdhsa_user_sgpr_count 2
		.amdhsa_user_sgpr_dispatch_ptr 0
		.amdhsa_user_sgpr_queue_ptr 0
		.amdhsa_user_sgpr_kernarg_segment_ptr 1
		.amdhsa_user_sgpr_dispatch_id 0
		.amdhsa_user_sgpr_kernarg_preload_length 0
		.amdhsa_user_sgpr_kernarg_preload_offset 0
		.amdhsa_user_sgpr_private_segment_size 0
		.amdhsa_wavefront_size32 1
		.amdhsa_uses_dynamic_stack 0
		.amdhsa_enable_private_segment 0
		.amdhsa_system_sgpr_workgroup_id_x 1
		.amdhsa_system_sgpr_workgroup_id_y 1
		.amdhsa_system_sgpr_workgroup_id_z 1
		.amdhsa_system_sgpr_workgroup_info 0
		.amdhsa_system_vgpr_workitem_id 1
		.amdhsa_next_free_vgpr 17
		.amdhsa_next_free_sgpr 27
		.amdhsa_named_barrier_count 0
		.amdhsa_reserve_vcc 1
		.amdhsa_float_round_mode_32 0
		.amdhsa_float_round_mode_16_64 0
		.amdhsa_float_denorm_mode_32 3
		.amdhsa_float_denorm_mode_16_64 3
		.amdhsa_fp16_overflow 0
		.amdhsa_memory_ordered 1
		.amdhsa_forward_progress 1
		.amdhsa_inst_pref_size 6
		.amdhsa_round_robin_scheduling 0
		.amdhsa_exception_fp_ieee_invalid_op 0
		.amdhsa_exception_fp_denorm_src 0
		.amdhsa_exception_fp_ieee_div_zero 0
		.amdhsa_exception_fp_ieee_overflow 0
		.amdhsa_exception_fp_ieee_underflow 0
		.amdhsa_exception_fp_ieee_inexact 0
		.amdhsa_exception_int_div_zero 0
	.end_amdhsa_kernel
	.section	.text._ZN9rocsolver6v33100L11gemm_kernelI19rocblas_complex_numIfEiS3_PKPS3_S6_S4_EEvT0_S7_S7_T1_bT2_lS7_S7_lbT3_lS7_S7_lS8_T4_lS7_S7_l,"axG",@progbits,_ZN9rocsolver6v33100L11gemm_kernelI19rocblas_complex_numIfEiS3_PKPS3_S6_S4_EEvT0_S7_S7_T1_bT2_lS7_S7_lbT3_lS7_S7_lS8_T4_lS7_S7_l,comdat
.Lfunc_end20:
	.size	_ZN9rocsolver6v33100L11gemm_kernelI19rocblas_complex_numIfEiS3_PKPS3_S6_S4_EEvT0_S7_S7_T1_bT2_lS7_S7_lbT3_lS7_S7_lS8_T4_lS7_S7_l, .Lfunc_end20-_ZN9rocsolver6v33100L11gemm_kernelI19rocblas_complex_numIfEiS3_PKPS3_S6_S4_EEvT0_S7_S7_T1_bT2_lS7_S7_lbT3_lS7_S7_lS8_T4_lS7_S7_l
                                        ; -- End function
	.set _ZN9rocsolver6v33100L11gemm_kernelI19rocblas_complex_numIfEiS3_PKPS3_S6_S4_EEvT0_S7_S7_T1_bT2_lS7_S7_lbT3_lS7_S7_lS8_T4_lS7_S7_l.num_vgpr, 17
	.set _ZN9rocsolver6v33100L11gemm_kernelI19rocblas_complex_numIfEiS3_PKPS3_S6_S4_EEvT0_S7_S7_T1_bT2_lS7_S7_lbT3_lS7_S7_lS8_T4_lS7_S7_l.num_agpr, 0
	.set _ZN9rocsolver6v33100L11gemm_kernelI19rocblas_complex_numIfEiS3_PKPS3_S6_S4_EEvT0_S7_S7_T1_bT2_lS7_S7_lbT3_lS7_S7_lS8_T4_lS7_S7_l.numbered_sgpr, 27
	.set _ZN9rocsolver6v33100L11gemm_kernelI19rocblas_complex_numIfEiS3_PKPS3_S6_S4_EEvT0_S7_S7_T1_bT2_lS7_S7_lbT3_lS7_S7_lS8_T4_lS7_S7_l.num_named_barrier, 0
	.set _ZN9rocsolver6v33100L11gemm_kernelI19rocblas_complex_numIfEiS3_PKPS3_S6_S4_EEvT0_S7_S7_T1_bT2_lS7_S7_lbT3_lS7_S7_lS8_T4_lS7_S7_l.private_seg_size, 0
	.set _ZN9rocsolver6v33100L11gemm_kernelI19rocblas_complex_numIfEiS3_PKPS3_S6_S4_EEvT0_S7_S7_T1_bT2_lS7_S7_lbT3_lS7_S7_lS8_T4_lS7_S7_l.uses_vcc, 1
	.set _ZN9rocsolver6v33100L11gemm_kernelI19rocblas_complex_numIfEiS3_PKPS3_S6_S4_EEvT0_S7_S7_T1_bT2_lS7_S7_lbT3_lS7_S7_lS8_T4_lS7_S7_l.uses_flat_scratch, 0
	.set _ZN9rocsolver6v33100L11gemm_kernelI19rocblas_complex_numIfEiS3_PKPS3_S6_S4_EEvT0_S7_S7_T1_bT2_lS7_S7_lbT3_lS7_S7_lS8_T4_lS7_S7_l.has_dyn_sized_stack, 0
	.set _ZN9rocsolver6v33100L11gemm_kernelI19rocblas_complex_numIfEiS3_PKPS3_S6_S4_EEvT0_S7_S7_T1_bT2_lS7_S7_lbT3_lS7_S7_lS8_T4_lS7_S7_l.has_recursion, 0
	.set _ZN9rocsolver6v33100L11gemm_kernelI19rocblas_complex_numIfEiS3_PKPS3_S6_S4_EEvT0_S7_S7_T1_bT2_lS7_S7_lbT3_lS7_S7_lS8_T4_lS7_S7_l.has_indirect_call, 0
	.section	.AMDGPU.csdata,"",@progbits
; Kernel info:
; codeLenInByte = 764
; TotalNumSgprs: 29
; NumVgprs: 17
; ScratchSize: 0
; MemoryBound: 0
; FloatMode: 240
; IeeeMode: 1
; LDSByteSize: 0 bytes/workgroup (compile time only)
; SGPRBlocks: 0
; VGPRBlocks: 1
; NumSGPRsForWavesPerEU: 29
; NumVGPRsForWavesPerEU: 17
; NamedBarCnt: 0
; Occupancy: 16
; WaveLimiterHint : 1
; COMPUTE_PGM_RSRC2:SCRATCH_EN: 0
; COMPUTE_PGM_RSRC2:USER_SGPR: 2
; COMPUTE_PGM_RSRC2:TRAP_HANDLER: 0
; COMPUTE_PGM_RSRC2:TGID_X_EN: 1
; COMPUTE_PGM_RSRC2:TGID_Y_EN: 1
; COMPUTE_PGM_RSRC2:TGID_Z_EN: 1
; COMPUTE_PGM_RSRC2:TIDIG_COMP_CNT: 1
	.section	.text._ZN9rocsolver6v33100L16mfma_gemm_kernelI19rocblas_complex_numIfEiPKS3_PKPS3_S6_S6_EEv18rocblas_operation_S9_T0_SA_SA_T1_T2_lSA_SA_lT3_lSA_SA_lSB_T4_lSA_SA_l,"axG",@progbits,_ZN9rocsolver6v33100L16mfma_gemm_kernelI19rocblas_complex_numIfEiPKS3_PKPS3_S6_S6_EEv18rocblas_operation_S9_T0_SA_SA_T1_T2_lSA_SA_lT3_lSA_SA_lSB_T4_lSA_SA_l,comdat
	.globl	_ZN9rocsolver6v33100L16mfma_gemm_kernelI19rocblas_complex_numIfEiPKS3_PKPS3_S6_S6_EEv18rocblas_operation_S9_T0_SA_SA_T1_T2_lSA_SA_lT3_lSA_SA_lSB_T4_lSA_SA_l ; -- Begin function _ZN9rocsolver6v33100L16mfma_gemm_kernelI19rocblas_complex_numIfEiPKS3_PKPS3_S6_S6_EEv18rocblas_operation_S9_T0_SA_SA_T1_T2_lSA_SA_lT3_lSA_SA_lSB_T4_lSA_SA_l
	.p2align	8
	.type	_ZN9rocsolver6v33100L16mfma_gemm_kernelI19rocblas_complex_numIfEiPKS3_PKPS3_S6_S6_EEv18rocblas_operation_S9_T0_SA_SA_T1_T2_lSA_SA_lT3_lSA_SA_lSB_T4_lSA_SA_l,@function
_ZN9rocsolver6v33100L16mfma_gemm_kernelI19rocblas_complex_numIfEiPKS3_PKPS3_S6_S6_EEv18rocblas_operation_S9_T0_SA_SA_T1_T2_lSA_SA_lT3_lSA_SA_lSB_T4_lSA_SA_l: ; @_ZN9rocsolver6v33100L16mfma_gemm_kernelI19rocblas_complex_numIfEiPKS3_PKPS3_S6_S6_EEv18rocblas_operation_S9_T0_SA_SA_T1_T2_lSA_SA_lT3_lSA_SA_lSB_T4_lSA_SA_l
; %bb.0:
	s_endpgm
	.section	.rodata,"a",@progbits
	.p2align	6, 0x0
	.amdhsa_kernel _ZN9rocsolver6v33100L16mfma_gemm_kernelI19rocblas_complex_numIfEiPKS3_PKPS3_S6_S6_EEv18rocblas_operation_S9_T0_SA_SA_T1_T2_lSA_SA_lT3_lSA_SA_lSB_T4_lSA_SA_l
		.amdhsa_group_segment_fixed_size 0
		.amdhsa_private_segment_fixed_size 0
		.amdhsa_kernarg_size 136
		.amdhsa_user_sgpr_count 2
		.amdhsa_user_sgpr_dispatch_ptr 0
		.amdhsa_user_sgpr_queue_ptr 0
		.amdhsa_user_sgpr_kernarg_segment_ptr 1
		.amdhsa_user_sgpr_dispatch_id 0
		.amdhsa_user_sgpr_kernarg_preload_length 0
		.amdhsa_user_sgpr_kernarg_preload_offset 0
		.amdhsa_user_sgpr_private_segment_size 0
		.amdhsa_wavefront_size32 1
		.amdhsa_uses_dynamic_stack 0
		.amdhsa_enable_private_segment 0
		.amdhsa_system_sgpr_workgroup_id_x 1
		.amdhsa_system_sgpr_workgroup_id_y 0
		.amdhsa_system_sgpr_workgroup_id_z 0
		.amdhsa_system_sgpr_workgroup_info 0
		.amdhsa_system_vgpr_workitem_id 0
		.amdhsa_next_free_vgpr 1
		.amdhsa_next_free_sgpr 1
		.amdhsa_named_barrier_count 0
		.amdhsa_reserve_vcc 0
		.amdhsa_float_round_mode_32 0
		.amdhsa_float_round_mode_16_64 0
		.amdhsa_float_denorm_mode_32 3
		.amdhsa_float_denorm_mode_16_64 3
		.amdhsa_fp16_overflow 0
		.amdhsa_memory_ordered 1
		.amdhsa_forward_progress 1
		.amdhsa_inst_pref_size 1
		.amdhsa_round_robin_scheduling 0
		.amdhsa_exception_fp_ieee_invalid_op 0
		.amdhsa_exception_fp_denorm_src 0
		.amdhsa_exception_fp_ieee_div_zero 0
		.amdhsa_exception_fp_ieee_overflow 0
		.amdhsa_exception_fp_ieee_underflow 0
		.amdhsa_exception_fp_ieee_inexact 0
		.amdhsa_exception_int_div_zero 0
	.end_amdhsa_kernel
	.section	.text._ZN9rocsolver6v33100L16mfma_gemm_kernelI19rocblas_complex_numIfEiPKS3_PKPS3_S6_S6_EEv18rocblas_operation_S9_T0_SA_SA_T1_T2_lSA_SA_lT3_lSA_SA_lSB_T4_lSA_SA_l,"axG",@progbits,_ZN9rocsolver6v33100L16mfma_gemm_kernelI19rocblas_complex_numIfEiPKS3_PKPS3_S6_S6_EEv18rocblas_operation_S9_T0_SA_SA_T1_T2_lSA_SA_lT3_lSA_SA_lSB_T4_lSA_SA_l,comdat
.Lfunc_end21:
	.size	_ZN9rocsolver6v33100L16mfma_gemm_kernelI19rocblas_complex_numIfEiPKS3_PKPS3_S6_S6_EEv18rocblas_operation_S9_T0_SA_SA_T1_T2_lSA_SA_lT3_lSA_SA_lSB_T4_lSA_SA_l, .Lfunc_end21-_ZN9rocsolver6v33100L16mfma_gemm_kernelI19rocblas_complex_numIfEiPKS3_PKPS3_S6_S6_EEv18rocblas_operation_S9_T0_SA_SA_T1_T2_lSA_SA_lT3_lSA_SA_lSB_T4_lSA_SA_l
                                        ; -- End function
	.set _ZN9rocsolver6v33100L16mfma_gemm_kernelI19rocblas_complex_numIfEiPKS3_PKPS3_S6_S6_EEv18rocblas_operation_S9_T0_SA_SA_T1_T2_lSA_SA_lT3_lSA_SA_lSB_T4_lSA_SA_l.num_vgpr, 0
	.set _ZN9rocsolver6v33100L16mfma_gemm_kernelI19rocblas_complex_numIfEiPKS3_PKPS3_S6_S6_EEv18rocblas_operation_S9_T0_SA_SA_T1_T2_lSA_SA_lT3_lSA_SA_lSB_T4_lSA_SA_l.num_agpr, 0
	.set _ZN9rocsolver6v33100L16mfma_gemm_kernelI19rocblas_complex_numIfEiPKS3_PKPS3_S6_S6_EEv18rocblas_operation_S9_T0_SA_SA_T1_T2_lSA_SA_lT3_lSA_SA_lSB_T4_lSA_SA_l.numbered_sgpr, 0
	.set _ZN9rocsolver6v33100L16mfma_gemm_kernelI19rocblas_complex_numIfEiPKS3_PKPS3_S6_S6_EEv18rocblas_operation_S9_T0_SA_SA_T1_T2_lSA_SA_lT3_lSA_SA_lSB_T4_lSA_SA_l.num_named_barrier, 0
	.set _ZN9rocsolver6v33100L16mfma_gemm_kernelI19rocblas_complex_numIfEiPKS3_PKPS3_S6_S6_EEv18rocblas_operation_S9_T0_SA_SA_T1_T2_lSA_SA_lT3_lSA_SA_lSB_T4_lSA_SA_l.private_seg_size, 0
	.set _ZN9rocsolver6v33100L16mfma_gemm_kernelI19rocblas_complex_numIfEiPKS3_PKPS3_S6_S6_EEv18rocblas_operation_S9_T0_SA_SA_T1_T2_lSA_SA_lT3_lSA_SA_lSB_T4_lSA_SA_l.uses_vcc, 0
	.set _ZN9rocsolver6v33100L16mfma_gemm_kernelI19rocblas_complex_numIfEiPKS3_PKPS3_S6_S6_EEv18rocblas_operation_S9_T0_SA_SA_T1_T2_lSA_SA_lT3_lSA_SA_lSB_T4_lSA_SA_l.uses_flat_scratch, 0
	.set _ZN9rocsolver6v33100L16mfma_gemm_kernelI19rocblas_complex_numIfEiPKS3_PKPS3_S6_S6_EEv18rocblas_operation_S9_T0_SA_SA_T1_T2_lSA_SA_lT3_lSA_SA_lSB_T4_lSA_SA_l.has_dyn_sized_stack, 0
	.set _ZN9rocsolver6v33100L16mfma_gemm_kernelI19rocblas_complex_numIfEiPKS3_PKPS3_S6_S6_EEv18rocblas_operation_S9_T0_SA_SA_T1_T2_lSA_SA_lT3_lSA_SA_lSB_T4_lSA_SA_l.has_recursion, 0
	.set _ZN9rocsolver6v33100L16mfma_gemm_kernelI19rocblas_complex_numIfEiPKS3_PKPS3_S6_S6_EEv18rocblas_operation_S9_T0_SA_SA_T1_T2_lSA_SA_lT3_lSA_SA_lSB_T4_lSA_SA_l.has_indirect_call, 0
	.section	.AMDGPU.csdata,"",@progbits
; Kernel info:
; codeLenInByte = 4
; TotalNumSgprs: 0
; NumVgprs: 0
; ScratchSize: 0
; MemoryBound: 0
; FloatMode: 240
; IeeeMode: 1
; LDSByteSize: 0 bytes/workgroup (compile time only)
; SGPRBlocks: 0
; VGPRBlocks: 0
; NumSGPRsForWavesPerEU: 1
; NumVGPRsForWavesPerEU: 1
; NamedBarCnt: 0
; Occupancy: 16
; WaveLimiterHint : 0
; COMPUTE_PGM_RSRC2:SCRATCH_EN: 0
; COMPUTE_PGM_RSRC2:USER_SGPR: 2
; COMPUTE_PGM_RSRC2:TRAP_HANDLER: 0
; COMPUTE_PGM_RSRC2:TGID_X_EN: 1
; COMPUTE_PGM_RSRC2:TGID_Y_EN: 0
; COMPUTE_PGM_RSRC2:TGID_Z_EN: 0
; COMPUTE_PGM_RSRC2:TIDIG_COMP_CNT: 0
	.section	.text._ZN9rocsolver6v33100L16mfma_gemm_kernelI19rocblas_complex_numIfEiS3_PKPS3_S4_S4_EEv18rocblas_operation_S7_T0_S8_S8_T1_T2_lS8_S8_lT3_lS8_S8_lS9_T4_lS8_S8_l,"axG",@progbits,_ZN9rocsolver6v33100L16mfma_gemm_kernelI19rocblas_complex_numIfEiS3_PKPS3_S4_S4_EEv18rocblas_operation_S7_T0_S8_S8_T1_T2_lS8_S8_lT3_lS8_S8_lS9_T4_lS8_S8_l,comdat
	.globl	_ZN9rocsolver6v33100L16mfma_gemm_kernelI19rocblas_complex_numIfEiS3_PKPS3_S4_S4_EEv18rocblas_operation_S7_T0_S8_S8_T1_T2_lS8_S8_lT3_lS8_S8_lS9_T4_lS8_S8_l ; -- Begin function _ZN9rocsolver6v33100L16mfma_gemm_kernelI19rocblas_complex_numIfEiS3_PKPS3_S4_S4_EEv18rocblas_operation_S7_T0_S8_S8_T1_T2_lS8_S8_lT3_lS8_S8_lS9_T4_lS8_S8_l
	.p2align	8
	.type	_ZN9rocsolver6v33100L16mfma_gemm_kernelI19rocblas_complex_numIfEiS3_PKPS3_S4_S4_EEv18rocblas_operation_S7_T0_S8_S8_T1_T2_lS8_S8_lT3_lS8_S8_lS9_T4_lS8_S8_l,@function
_ZN9rocsolver6v33100L16mfma_gemm_kernelI19rocblas_complex_numIfEiS3_PKPS3_S4_S4_EEv18rocblas_operation_S7_T0_S8_S8_T1_T2_lS8_S8_lT3_lS8_S8_lS9_T4_lS8_S8_l: ; @_ZN9rocsolver6v33100L16mfma_gemm_kernelI19rocblas_complex_numIfEiS3_PKPS3_S4_S4_EEv18rocblas_operation_S7_T0_S8_S8_T1_T2_lS8_S8_lT3_lS8_S8_lS9_T4_lS8_S8_l
; %bb.0:
	s_endpgm
	.section	.rodata,"a",@progbits
	.p2align	6, 0x0
	.amdhsa_kernel _ZN9rocsolver6v33100L16mfma_gemm_kernelI19rocblas_complex_numIfEiS3_PKPS3_S4_S4_EEv18rocblas_operation_S7_T0_S8_S8_T1_T2_lS8_S8_lT3_lS8_S8_lS9_T4_lS8_S8_l
		.amdhsa_group_segment_fixed_size 0
		.amdhsa_private_segment_fixed_size 0
		.amdhsa_kernarg_size 136
		.amdhsa_user_sgpr_count 2
		.amdhsa_user_sgpr_dispatch_ptr 0
		.amdhsa_user_sgpr_queue_ptr 0
		.amdhsa_user_sgpr_kernarg_segment_ptr 1
		.amdhsa_user_sgpr_dispatch_id 0
		.amdhsa_user_sgpr_kernarg_preload_length 0
		.amdhsa_user_sgpr_kernarg_preload_offset 0
		.amdhsa_user_sgpr_private_segment_size 0
		.amdhsa_wavefront_size32 1
		.amdhsa_uses_dynamic_stack 0
		.amdhsa_enable_private_segment 0
		.amdhsa_system_sgpr_workgroup_id_x 1
		.amdhsa_system_sgpr_workgroup_id_y 0
		.amdhsa_system_sgpr_workgroup_id_z 0
		.amdhsa_system_sgpr_workgroup_info 0
		.amdhsa_system_vgpr_workitem_id 0
		.amdhsa_next_free_vgpr 1
		.amdhsa_next_free_sgpr 1
		.amdhsa_named_barrier_count 0
		.amdhsa_reserve_vcc 0
		.amdhsa_float_round_mode_32 0
		.amdhsa_float_round_mode_16_64 0
		.amdhsa_float_denorm_mode_32 3
		.amdhsa_float_denorm_mode_16_64 3
		.amdhsa_fp16_overflow 0
		.amdhsa_memory_ordered 1
		.amdhsa_forward_progress 1
		.amdhsa_inst_pref_size 1
		.amdhsa_round_robin_scheduling 0
		.amdhsa_exception_fp_ieee_invalid_op 0
		.amdhsa_exception_fp_denorm_src 0
		.amdhsa_exception_fp_ieee_div_zero 0
		.amdhsa_exception_fp_ieee_overflow 0
		.amdhsa_exception_fp_ieee_underflow 0
		.amdhsa_exception_fp_ieee_inexact 0
		.amdhsa_exception_int_div_zero 0
	.end_amdhsa_kernel
	.section	.text._ZN9rocsolver6v33100L16mfma_gemm_kernelI19rocblas_complex_numIfEiS3_PKPS3_S4_S4_EEv18rocblas_operation_S7_T0_S8_S8_T1_T2_lS8_S8_lT3_lS8_S8_lS9_T4_lS8_S8_l,"axG",@progbits,_ZN9rocsolver6v33100L16mfma_gemm_kernelI19rocblas_complex_numIfEiS3_PKPS3_S4_S4_EEv18rocblas_operation_S7_T0_S8_S8_T1_T2_lS8_S8_lT3_lS8_S8_lS9_T4_lS8_S8_l,comdat
.Lfunc_end22:
	.size	_ZN9rocsolver6v33100L16mfma_gemm_kernelI19rocblas_complex_numIfEiS3_PKPS3_S4_S4_EEv18rocblas_operation_S7_T0_S8_S8_T1_T2_lS8_S8_lT3_lS8_S8_lS9_T4_lS8_S8_l, .Lfunc_end22-_ZN9rocsolver6v33100L16mfma_gemm_kernelI19rocblas_complex_numIfEiS3_PKPS3_S4_S4_EEv18rocblas_operation_S7_T0_S8_S8_T1_T2_lS8_S8_lT3_lS8_S8_lS9_T4_lS8_S8_l
                                        ; -- End function
	.set _ZN9rocsolver6v33100L16mfma_gemm_kernelI19rocblas_complex_numIfEiS3_PKPS3_S4_S4_EEv18rocblas_operation_S7_T0_S8_S8_T1_T2_lS8_S8_lT3_lS8_S8_lS9_T4_lS8_S8_l.num_vgpr, 0
	.set _ZN9rocsolver6v33100L16mfma_gemm_kernelI19rocblas_complex_numIfEiS3_PKPS3_S4_S4_EEv18rocblas_operation_S7_T0_S8_S8_T1_T2_lS8_S8_lT3_lS8_S8_lS9_T4_lS8_S8_l.num_agpr, 0
	.set _ZN9rocsolver6v33100L16mfma_gemm_kernelI19rocblas_complex_numIfEiS3_PKPS3_S4_S4_EEv18rocblas_operation_S7_T0_S8_S8_T1_T2_lS8_S8_lT3_lS8_S8_lS9_T4_lS8_S8_l.numbered_sgpr, 0
	.set _ZN9rocsolver6v33100L16mfma_gemm_kernelI19rocblas_complex_numIfEiS3_PKPS3_S4_S4_EEv18rocblas_operation_S7_T0_S8_S8_T1_T2_lS8_S8_lT3_lS8_S8_lS9_T4_lS8_S8_l.num_named_barrier, 0
	.set _ZN9rocsolver6v33100L16mfma_gemm_kernelI19rocblas_complex_numIfEiS3_PKPS3_S4_S4_EEv18rocblas_operation_S7_T0_S8_S8_T1_T2_lS8_S8_lT3_lS8_S8_lS9_T4_lS8_S8_l.private_seg_size, 0
	.set _ZN9rocsolver6v33100L16mfma_gemm_kernelI19rocblas_complex_numIfEiS3_PKPS3_S4_S4_EEv18rocblas_operation_S7_T0_S8_S8_T1_T2_lS8_S8_lT3_lS8_S8_lS9_T4_lS8_S8_l.uses_vcc, 0
	.set _ZN9rocsolver6v33100L16mfma_gemm_kernelI19rocblas_complex_numIfEiS3_PKPS3_S4_S4_EEv18rocblas_operation_S7_T0_S8_S8_T1_T2_lS8_S8_lT3_lS8_S8_lS9_T4_lS8_S8_l.uses_flat_scratch, 0
	.set _ZN9rocsolver6v33100L16mfma_gemm_kernelI19rocblas_complex_numIfEiS3_PKPS3_S4_S4_EEv18rocblas_operation_S7_T0_S8_S8_T1_T2_lS8_S8_lT3_lS8_S8_lS9_T4_lS8_S8_l.has_dyn_sized_stack, 0
	.set _ZN9rocsolver6v33100L16mfma_gemm_kernelI19rocblas_complex_numIfEiS3_PKPS3_S4_S4_EEv18rocblas_operation_S7_T0_S8_S8_T1_T2_lS8_S8_lT3_lS8_S8_lS9_T4_lS8_S8_l.has_recursion, 0
	.set _ZN9rocsolver6v33100L16mfma_gemm_kernelI19rocblas_complex_numIfEiS3_PKPS3_S4_S4_EEv18rocblas_operation_S7_T0_S8_S8_T1_T2_lS8_S8_lT3_lS8_S8_lS9_T4_lS8_S8_l.has_indirect_call, 0
	.section	.AMDGPU.csdata,"",@progbits
; Kernel info:
; codeLenInByte = 4
; TotalNumSgprs: 0
; NumVgprs: 0
; ScratchSize: 0
; MemoryBound: 0
; FloatMode: 240
; IeeeMode: 1
; LDSByteSize: 0 bytes/workgroup (compile time only)
; SGPRBlocks: 0
; VGPRBlocks: 0
; NumSGPRsForWavesPerEU: 1
; NumVGPRsForWavesPerEU: 1
; NamedBarCnt: 0
; Occupancy: 16
; WaveLimiterHint : 0
; COMPUTE_PGM_RSRC2:SCRATCH_EN: 0
; COMPUTE_PGM_RSRC2:USER_SGPR: 2
; COMPUTE_PGM_RSRC2:TRAP_HANDLER: 0
; COMPUTE_PGM_RSRC2:TGID_X_EN: 1
; COMPUTE_PGM_RSRC2:TGID_Y_EN: 0
; COMPUTE_PGM_RSRC2:TGID_Z_EN: 0
; COMPUTE_PGM_RSRC2:TIDIG_COMP_CNT: 0
	.section	.text._ZN9rocsolver6v33100L11gemm_kernelI19rocblas_complex_numIfEiPKS3_PKPS3_S6_S6_EEvT0_S9_S9_T1_bT2_lS9_S9_lbT3_lS9_S9_lSA_T4_lS9_S9_l,"axG",@progbits,_ZN9rocsolver6v33100L11gemm_kernelI19rocblas_complex_numIfEiPKS3_PKPS3_S6_S6_EEvT0_S9_S9_T1_bT2_lS9_S9_lbT3_lS9_S9_lSA_T4_lS9_S9_l,comdat
	.globl	_ZN9rocsolver6v33100L11gemm_kernelI19rocblas_complex_numIfEiPKS3_PKPS3_S6_S6_EEvT0_S9_S9_T1_bT2_lS9_S9_lbT3_lS9_S9_lSA_T4_lS9_S9_l ; -- Begin function _ZN9rocsolver6v33100L11gemm_kernelI19rocblas_complex_numIfEiPKS3_PKPS3_S6_S6_EEvT0_S9_S9_T1_bT2_lS9_S9_lbT3_lS9_S9_lSA_T4_lS9_S9_l
	.p2align	8
	.type	_ZN9rocsolver6v33100L11gemm_kernelI19rocblas_complex_numIfEiPKS3_PKPS3_S6_S6_EEvT0_S9_S9_T1_bT2_lS9_S9_lbT3_lS9_S9_lSA_T4_lS9_S9_l,@function
_ZN9rocsolver6v33100L11gemm_kernelI19rocblas_complex_numIfEiPKS3_PKPS3_S6_S6_EEvT0_S9_S9_T1_bT2_lS9_S9_lbT3_lS9_S9_lSA_T4_lS9_S9_l: ; @_ZN9rocsolver6v33100L11gemm_kernelI19rocblas_complex_numIfEiPKS3_PKPS3_S6_S6_EEvT0_S9_S9_T1_bT2_lS9_S9_lbT3_lS9_S9_lSA_T4_lS9_S9_l
; %bb.0:
	s_clause 0x1
	s_load_b32 s2, s[0:1], 0x9c
	s_load_b96 s[12:14], s[0:1], 0x0
	s_bfe_u32 s4, ttmp6, 0x4000c
	s_bfe_u32 s6, ttmp6, 0x40010
	s_and_b32 s5, ttmp7, 0xffff
	s_add_co_i32 s4, s4, 1
	s_add_co_i32 s6, s6, 1
	s_and_b32 s3, ttmp6, 15
	s_bfe_u32 s7, ttmp6, 0x40004
	s_mul_i32 s4, ttmp9, s4
	s_mul_i32 s6, s5, s6
	s_getreg_b32 s15, hwreg(HW_REG_IB_STS2, 6, 4)
	v_bfe_u32 v2, v0, 10, 10
	v_and_b32_e32 v0, 0x3ff, v0
	s_add_co_i32 s3, s3, s4
	s_add_co_i32 s7, s7, s6
	s_wait_kmcnt 0x0
	s_and_b32 s4, s2, 0xffff
	s_lshr_b32 s2, s2, 16
	s_cmp_eq_u32 s15, 0
	s_cselect_b32 s3, ttmp9, s3
	s_cselect_b32 s5, s5, s7
	v_mad_u32 v1, s3, s4, v0
	v_mad_u32 v3, s5, s2, v2
	s_mov_b32 s3, 0
	s_delay_alu instid0(VALU_DEP_2) | instskip(NEXT) | instid1(VALU_DEP_2)
	v_cmp_gt_i32_e32 vcc_lo, s12, v1
	v_cmp_gt_i32_e64 s2, s13, v3
	s_and_b32 s2, vcc_lo, s2
	s_delay_alu instid0(SALU_CYCLE_1)
	s_and_saveexec_b32 s4, s2
	s_cbranch_execz .LBB23_10
; %bb.1:
	s_clause 0x1
	s_load_b64 s[18:19], s[0:1], 0x10
	s_load_b256 s[4:11], s[0:1], 0x60
	s_bfe_u32 s2, ttmp6, 0x40014
	s_wait_kmcnt 0x0
	s_load_b64 s[16:17], s[18:19], 0x0
	s_load_b64 s[12:13], s[6:7], 0x0
	s_wait_xcnt 0x0
	s_lshr_b32 s6, ttmp7, 16
	s_add_co_i32 s2, s2, 1
	s_bfe_u32 s7, ttmp6, 0x40008
	s_mul_i32 s2, s6, s2
	s_delay_alu instid0(SALU_CYCLE_1)
	s_add_co_i32 s7, s7, s2
	s_cmp_eq_u32 s15, 0
	s_cselect_b32 s2, s6, s7
	s_cmp_lt_i32 s14, 1
	s_cbranch_scc1 .LBB23_8
; %bb.2:
	s_clause 0x5
	s_load_b128 s[20:23], s[0:1], 0x20
	s_load_b32 s15, s[0:1], 0x18
	s_load_b64 s[6:7], s[0:1], 0x30
	s_load_b64 s[18:19], s[0:1], 0x58
	s_load_b32 s28, s[0:1], 0x40
	s_load_b128 s[24:27], s[0:1], 0x48
	s_mul_u64 s[4:5], s[4:5], s[2:3]
	v_dual_mov_b32 v0, 0 :: v_dual_mov_b32 v2, 0
	s_wait_kmcnt 0x0
	s_load_b64 s[20:21], s[20:21], s2 offset:0x0 scale_offset
	s_bitcmp1_b32 s15, 0
	v_mul_lo_u32 v4, v1, s6
	s_cselect_b32 s6, -1, 0
	v_mul_lo_u32 v10, v3, s19
	s_xor_b32 s6, s6, -1
	s_bitcmp1_b32 s28, 0
	s_cselect_b32 s15, -1, 0
	s_lshl_b64 s[4:5], s[4:5], 3
	s_lshl_b64 s[22:23], s[22:23], 3
	;; [unrolled: 1-line block ×3, first 2 shown]
	s_add_nc_u64 s[24:25], s[24:25], s[4:5]
	s_wait_kmcnt 0x0
	s_add_nc_u64 s[4:5], s[20:21], s[22:23]
	s_add_nc_u64 s[20:21], s[24:25], s[26:27]
	s_branch .LBB23_4
.LBB23_3:                               ;   in Loop: Header=BB23_4 Depth=1
	global_load_b64 v[8:9], v10, s[20:21] scale_offset
	s_add_co_i32 s14, s14, -1
	v_add_nc_u32_e32 v4, s7, v4
	s_cmp_eq_u32 s14, 0
	s_wait_loadcnt_dscnt 0x0
	v_dual_cndmask_b32 v5, v9, -v9, s15 :: v_dual_mul_f32 v9, v7, v8
	s_delay_alu instid0(VALU_DEP_1) | instskip(SKIP_1) | instid1(VALU_DEP_2)
	v_dual_mul_f32 v7, v7, v5 :: v_dual_fmac_f32 v9, v5, v6
	v_add_nc_u32_e32 v10, s18, v10
	v_fma_f32 v5, v8, v6, -v7
	s_delay_alu instid0(VALU_DEP_3) | instskip(NEXT) | instid1(VALU_DEP_2)
	v_add_f32_e32 v0, v0, v9
	v_add_f32_e32 v2, v2, v5
	s_cbranch_scc1 .LBB23_9
.LBB23_4:                               ; =>This Inner Loop Header: Depth=1
	v_ashrrev_i32_e32 v5, 31, v4
	s_and_b32 vcc_lo, exec_lo, s6
	s_mov_b32 s19, -1
                                        ; implicit-def: $vgpr7
	s_delay_alu instid0(VALU_DEP_1)
	v_lshl_add_u64 v[8:9], v[4:5], 3, s[4:5]
	s_cbranch_vccz .LBB23_6
; %bb.5:                                ;   in Loop: Header=BB23_4 Depth=1
	flat_load_b64 v[6:7], v[8:9]
	s_mov_b32 s19, 0
.LBB23_6:                               ;   in Loop: Header=BB23_4 Depth=1
	s_delay_alu instid0(SALU_CYCLE_1)
	s_and_not1_b32 vcc_lo, exec_lo, s19
	s_cbranch_vccnz .LBB23_3
; %bb.7:                                ;   in Loop: Header=BB23_4 Depth=1
	s_wait_loadcnt_dscnt 0x0
	flat_load_b64 v[6:7], v[8:9]
	s_wait_loadcnt_dscnt 0x0
	v_xor_b32_e32 v7, 0x80000000, v7
	s_branch .LBB23_3
.LBB23_8:
	v_dual_mov_b32 v0, 0 :: v_dual_mov_b32 v2, 0
.LBB23_9:
	s_load_b128 s[4:7], s[0:1], 0x80
	s_wait_kmcnt 0x0
	v_mov_b64_e32 v[6:7], s[16:17]
	v_mov_b64_e32 v[8:9], s[12:13]
	v_mul_lo_u32 v1, v1, s4
	s_mul_u64 s[0:1], s[6:7], s[2:3]
	s_lshl_b64 s[2:3], s[10:11], 3
	s_lshl_b64 s[0:1], s[0:1], 3
	s_delay_alu instid0(SALU_CYCLE_1) | instskip(NEXT) | instid1(SALU_CYCLE_1)
	s_add_nc_u64 s[0:1], s[8:9], s[0:1]
	s_add_nc_u64 s[0:1], s[0:1], s[2:3]
	s_delay_alu instid0(VALU_DEP_1) | instskip(SKIP_1) | instid1(VALU_DEP_1)
	v_mad_u32 v16, v3, s5, v1
	v_pk_mul_f32 v[0:1], v[6:7], v[0:1] op_sel:[1,0] op_sel_hi:[0,0]
	v_pk_fma_f32 v[12:13], v[6:7], v[2:3], v[0:1] op_sel_hi:[1,0,1]
	v_pk_fma_f32 v[0:1], v[6:7], v[2:3], v[0:1] neg_lo:[0,0,1] neg_hi:[0,0,1]
	global_load_b64 v[4:5], v16, s[0:1] scale_offset
	s_wait_loadcnt 0x0
	v_pk_mul_f32 v[10:11], v[8:9], v[4:5] op_sel:[1,1] op_sel_hi:[0,1]
	s_delay_alu instid0(VALU_DEP_1) | instskip(SKIP_1) | instid1(VALU_DEP_2)
	v_pk_fma_f32 v[14:15], v[8:9], v[4:5], v[10:11] op_sel_hi:[1,0,1]
	v_pk_fma_f32 v[2:3], v[8:9], v[4:5], v[10:11] neg_lo:[0,0,1] neg_hi:[0,0,1]
	v_dual_mov_b32 v1, v13 :: v_dual_mov_b32 v3, v15
	s_delay_alu instid0(VALU_DEP_1)
	v_pk_add_f32 v[0:1], v[0:1], v[2:3]
	global_store_b64 v16, v[0:1], s[0:1] scale_offset
.LBB23_10:
	s_endpgm
	.section	.rodata,"a",@progbits
	.p2align	6, 0x0
	.amdhsa_kernel _ZN9rocsolver6v33100L11gemm_kernelI19rocblas_complex_numIfEiPKS3_PKPS3_S6_S6_EEvT0_S9_S9_T1_bT2_lS9_S9_lbT3_lS9_S9_lSA_T4_lS9_S9_l
		.amdhsa_group_segment_fixed_size 0
		.amdhsa_private_segment_fixed_size 0
		.amdhsa_kernarg_size 400
		.amdhsa_user_sgpr_count 2
		.amdhsa_user_sgpr_dispatch_ptr 0
		.amdhsa_user_sgpr_queue_ptr 0
		.amdhsa_user_sgpr_kernarg_segment_ptr 1
		.amdhsa_user_sgpr_dispatch_id 0
		.amdhsa_user_sgpr_kernarg_preload_length 0
		.amdhsa_user_sgpr_kernarg_preload_offset 0
		.amdhsa_user_sgpr_private_segment_size 0
		.amdhsa_wavefront_size32 1
		.amdhsa_uses_dynamic_stack 0
		.amdhsa_enable_private_segment 0
		.amdhsa_system_sgpr_workgroup_id_x 1
		.amdhsa_system_sgpr_workgroup_id_y 1
		.amdhsa_system_sgpr_workgroup_id_z 1
		.amdhsa_system_sgpr_workgroup_info 0
		.amdhsa_system_vgpr_workitem_id 1
		.amdhsa_next_free_vgpr 17
		.amdhsa_next_free_sgpr 29
		.amdhsa_named_barrier_count 0
		.amdhsa_reserve_vcc 1
		.amdhsa_float_round_mode_32 0
		.amdhsa_float_round_mode_16_64 0
		.amdhsa_float_denorm_mode_32 3
		.amdhsa_float_denorm_mode_16_64 3
		.amdhsa_fp16_overflow 0
		.amdhsa_memory_ordered 1
		.amdhsa_forward_progress 1
		.amdhsa_inst_pref_size 7
		.amdhsa_round_robin_scheduling 0
		.amdhsa_exception_fp_ieee_invalid_op 0
		.amdhsa_exception_fp_denorm_src 0
		.amdhsa_exception_fp_ieee_div_zero 0
		.amdhsa_exception_fp_ieee_overflow 0
		.amdhsa_exception_fp_ieee_underflow 0
		.amdhsa_exception_fp_ieee_inexact 0
		.amdhsa_exception_int_div_zero 0
	.end_amdhsa_kernel
	.section	.text._ZN9rocsolver6v33100L11gemm_kernelI19rocblas_complex_numIfEiPKS3_PKPS3_S6_S6_EEvT0_S9_S9_T1_bT2_lS9_S9_lbT3_lS9_S9_lSA_T4_lS9_S9_l,"axG",@progbits,_ZN9rocsolver6v33100L11gemm_kernelI19rocblas_complex_numIfEiPKS3_PKPS3_S6_S6_EEvT0_S9_S9_T1_bT2_lS9_S9_lbT3_lS9_S9_lSA_T4_lS9_S9_l,comdat
.Lfunc_end23:
	.size	_ZN9rocsolver6v33100L11gemm_kernelI19rocblas_complex_numIfEiPKS3_PKPS3_S6_S6_EEvT0_S9_S9_T1_bT2_lS9_S9_lbT3_lS9_S9_lSA_T4_lS9_S9_l, .Lfunc_end23-_ZN9rocsolver6v33100L11gemm_kernelI19rocblas_complex_numIfEiPKS3_PKPS3_S6_S6_EEvT0_S9_S9_T1_bT2_lS9_S9_lbT3_lS9_S9_lSA_T4_lS9_S9_l
                                        ; -- End function
	.set _ZN9rocsolver6v33100L11gemm_kernelI19rocblas_complex_numIfEiPKS3_PKPS3_S6_S6_EEvT0_S9_S9_T1_bT2_lS9_S9_lbT3_lS9_S9_lSA_T4_lS9_S9_l.num_vgpr, 17
	.set _ZN9rocsolver6v33100L11gemm_kernelI19rocblas_complex_numIfEiPKS3_PKPS3_S6_S6_EEvT0_S9_S9_T1_bT2_lS9_S9_lbT3_lS9_S9_lSA_T4_lS9_S9_l.num_agpr, 0
	.set _ZN9rocsolver6v33100L11gemm_kernelI19rocblas_complex_numIfEiPKS3_PKPS3_S6_S6_EEvT0_S9_S9_T1_bT2_lS9_S9_lbT3_lS9_S9_lSA_T4_lS9_S9_l.numbered_sgpr, 29
	.set _ZN9rocsolver6v33100L11gemm_kernelI19rocblas_complex_numIfEiPKS3_PKPS3_S6_S6_EEvT0_S9_S9_T1_bT2_lS9_S9_lbT3_lS9_S9_lSA_T4_lS9_S9_l.num_named_barrier, 0
	.set _ZN9rocsolver6v33100L11gemm_kernelI19rocblas_complex_numIfEiPKS3_PKPS3_S6_S6_EEvT0_S9_S9_T1_bT2_lS9_S9_lbT3_lS9_S9_lSA_T4_lS9_S9_l.private_seg_size, 0
	.set _ZN9rocsolver6v33100L11gemm_kernelI19rocblas_complex_numIfEiPKS3_PKPS3_S6_S6_EEvT0_S9_S9_T1_bT2_lS9_S9_lbT3_lS9_S9_lSA_T4_lS9_S9_l.uses_vcc, 1
	.set _ZN9rocsolver6v33100L11gemm_kernelI19rocblas_complex_numIfEiPKS3_PKPS3_S6_S6_EEvT0_S9_S9_T1_bT2_lS9_S9_lbT3_lS9_S9_lSA_T4_lS9_S9_l.uses_flat_scratch, 0
	.set _ZN9rocsolver6v33100L11gemm_kernelI19rocblas_complex_numIfEiPKS3_PKPS3_S6_S6_EEvT0_S9_S9_T1_bT2_lS9_S9_lbT3_lS9_S9_lSA_T4_lS9_S9_l.has_dyn_sized_stack, 0
	.set _ZN9rocsolver6v33100L11gemm_kernelI19rocblas_complex_numIfEiPKS3_PKPS3_S6_S6_EEvT0_S9_S9_T1_bT2_lS9_S9_lbT3_lS9_S9_lSA_T4_lS9_S9_l.has_recursion, 0
	.set _ZN9rocsolver6v33100L11gemm_kernelI19rocblas_complex_numIfEiPKS3_PKPS3_S6_S6_EEvT0_S9_S9_T1_bT2_lS9_S9_lbT3_lS9_S9_lSA_T4_lS9_S9_l.has_indirect_call, 0
	.section	.AMDGPU.csdata,"",@progbits
; Kernel info:
; codeLenInByte = 780
; TotalNumSgprs: 31
; NumVgprs: 17
; ScratchSize: 0
; MemoryBound: 0
; FloatMode: 240
; IeeeMode: 1
; LDSByteSize: 0 bytes/workgroup (compile time only)
; SGPRBlocks: 0
; VGPRBlocks: 1
; NumSGPRsForWavesPerEU: 31
; NumVGPRsForWavesPerEU: 17
; NamedBarCnt: 0
; Occupancy: 16
; WaveLimiterHint : 1
; COMPUTE_PGM_RSRC2:SCRATCH_EN: 0
; COMPUTE_PGM_RSRC2:USER_SGPR: 2
; COMPUTE_PGM_RSRC2:TRAP_HANDLER: 0
; COMPUTE_PGM_RSRC2:TGID_X_EN: 1
; COMPUTE_PGM_RSRC2:TGID_Y_EN: 1
; COMPUTE_PGM_RSRC2:TGID_Z_EN: 1
; COMPUTE_PGM_RSRC2:TIDIG_COMP_CNT: 1
	.section	.text._ZN9rocsolver6v33100L11gemm_kernelI19rocblas_complex_numIfEiS3_PKPS3_S4_S4_EEvT0_S7_S7_T1_bT2_lS7_S7_lbT3_lS7_S7_lS8_T4_lS7_S7_l,"axG",@progbits,_ZN9rocsolver6v33100L11gemm_kernelI19rocblas_complex_numIfEiS3_PKPS3_S4_S4_EEvT0_S7_S7_T1_bT2_lS7_S7_lbT3_lS7_S7_lS8_T4_lS7_S7_l,comdat
	.globl	_ZN9rocsolver6v33100L11gemm_kernelI19rocblas_complex_numIfEiS3_PKPS3_S4_S4_EEvT0_S7_S7_T1_bT2_lS7_S7_lbT3_lS7_S7_lS8_T4_lS7_S7_l ; -- Begin function _ZN9rocsolver6v33100L11gemm_kernelI19rocblas_complex_numIfEiS3_PKPS3_S4_S4_EEvT0_S7_S7_T1_bT2_lS7_S7_lbT3_lS7_S7_lS8_T4_lS7_S7_l
	.p2align	8
	.type	_ZN9rocsolver6v33100L11gemm_kernelI19rocblas_complex_numIfEiS3_PKPS3_S4_S4_EEvT0_S7_S7_T1_bT2_lS7_S7_lbT3_lS7_S7_lS8_T4_lS7_S7_l,@function
_ZN9rocsolver6v33100L11gemm_kernelI19rocblas_complex_numIfEiS3_PKPS3_S4_S4_EEvT0_S7_S7_T1_bT2_lS7_S7_lbT3_lS7_S7_lS8_T4_lS7_S7_l: ; @_ZN9rocsolver6v33100L11gemm_kernelI19rocblas_complex_numIfEiS3_PKPS3_S4_S4_EEvT0_S7_S7_T1_bT2_lS7_S7_lbT3_lS7_S7_lS8_T4_lS7_S7_l
; %bb.0:
	s_clause 0x1
	s_load_b32 s2, s[0:1], 0x94
	s_load_b128 s[12:15], s[0:1], 0x0
	s_bfe_u32 s5, ttmp6, 0x4000c
	s_bfe_u32 s7, ttmp6, 0x40010
	s_and_b32 s6, ttmp7, 0xffff
	s_add_co_i32 s5, s5, 1
	s_add_co_i32 s7, s7, 1
	s_and_b32 s3, ttmp6, 15
	s_bfe_u32 s8, ttmp6, 0x40004
	s_mul_i32 s5, ttmp9, s5
	s_mul_i32 s7, s6, s7
	s_getreg_b32 s4, hwreg(HW_REG_IB_STS2, 6, 4)
	v_bfe_u32 v2, v0, 10, 10
	v_and_b32_e32 v0, 0x3ff, v0
	s_add_co_i32 s3, s3, s5
	s_add_co_i32 s8, s8, s7
	s_mov_b32 s17, 0
	s_wait_kmcnt 0x0
	s_and_b32 s5, s2, 0xffff
	s_lshr_b32 s2, s2, 16
	s_cmp_eq_u32 s4, 0
	s_cselect_b32 s3, ttmp9, s3
	s_cselect_b32 s6, s6, s8
	v_mad_u32 v1, s3, s5, v0
	v_mad_u32 v3, s6, s2, v2
	s_delay_alu instid0(VALU_DEP_2) | instskip(NEXT) | instid1(VALU_DEP_2)
	v_cmp_gt_i32_e32 vcc_lo, s12, v1
	v_cmp_gt_i32_e64 s2, s13, v3
	s_and_b32 s2, vcc_lo, s2
	s_delay_alu instid0(SALU_CYCLE_1)
	s_and_saveexec_b32 s3, s2
	s_cbranch_execz .LBB24_10
; %bb.1:
	s_clause 0x1
	s_load_b64 s[2:3], s[0:1], 0x10
	s_load_b64 s[12:13], s[0:1], 0x60
	s_bfe_u32 s5, ttmp6, 0x40014
	s_lshr_b32 s6, ttmp7, 16
	s_add_co_i32 s5, s5, 1
	s_bfe_u32 s7, ttmp6, 0x40008
	s_mul_i32 s5, s6, s5
	s_delay_alu instid0(SALU_CYCLE_1)
	s_add_co_i32 s7, s7, s5
	s_cmp_eq_u32 s4, 0
	s_cselect_b32 s16, s6, s7
	s_cmp_lt_i32 s14, 1
	s_cbranch_scc1 .LBB24_8
; %bb.2:
	s_clause 0x3
	s_load_b128 s[20:23], s[0:1], 0x18
	s_load_b64 s[18:19], s[0:1], 0x28
	s_load_b256 s[4:11], s[0:1], 0x40
	s_load_b32 s24, s[0:1], 0x38
	s_wait_kmcnt 0x0
	s_bitcmp1_b32 s3, 0
	v_dual_mov_b32 v0, 0 :: v_dual_mov_b32 v2, 0
	s_cselect_b32 s3, -1, 0
	s_delay_alu instid0(SALU_CYCLE_1)
	s_xor_b32 s3, s3, -1
	s_load_b64 s[20:21], s[20:21], s16 offset:0x0 scale_offset
	v_mul_lo_u32 v4, v1, s18
	v_mul_lo_u32 v10, v3, s9
	s_bitcmp1_b32 s24, 0
	s_mul_u64 s[10:11], s[10:11], s[16:17]
	s_cselect_b32 s9, -1, 0
	s_lshl_b64 s[10:11], s[10:11], 3
	s_lshl_b64 s[22:23], s[22:23], 3
	;; [unrolled: 1-line block ×3, first 2 shown]
	s_add_nc_u64 s[10:11], s[4:5], s[10:11]
	s_delay_alu instid0(SALU_CYCLE_1)
	s_add_nc_u64 s[6:7], s[10:11], s[6:7]
	s_wait_kmcnt 0x0
	s_add_nc_u64 s[4:5], s[20:21], s[22:23]
	s_branch .LBB24_4
.LBB24_3:                               ;   in Loop: Header=BB24_4 Depth=1
	global_load_b64 v[8:9], v10, s[6:7] scale_offset
	s_add_co_i32 s14, s14, -1
	v_add_nc_u32_e32 v4, s19, v4
	s_cmp_eq_u32 s14, 0
	s_wait_loadcnt_dscnt 0x0
	v_dual_cndmask_b32 v5, v9, -v9, s9 :: v_dual_mul_f32 v9, v7, v8
	s_delay_alu instid0(VALU_DEP_1) | instskip(SKIP_1) | instid1(VALU_DEP_2)
	v_dual_mul_f32 v7, v7, v5 :: v_dual_fmac_f32 v9, v5, v6
	v_add_nc_u32_e32 v10, s8, v10
	v_fma_f32 v5, v8, v6, -v7
	s_delay_alu instid0(VALU_DEP_3) | instskip(NEXT) | instid1(VALU_DEP_2)
	v_add_f32_e32 v0, v0, v9
	v_add_f32_e32 v2, v2, v5
	s_cbranch_scc1 .LBB24_9
.LBB24_4:                               ; =>This Inner Loop Header: Depth=1
	v_ashrrev_i32_e32 v5, 31, v4
	s_and_b32 vcc_lo, exec_lo, s3
	s_mov_b32 s10, -1
                                        ; implicit-def: $vgpr7
	s_delay_alu instid0(VALU_DEP_1)
	v_lshl_add_u64 v[8:9], v[4:5], 3, s[4:5]
	s_cbranch_vccz .LBB24_6
; %bb.5:                                ;   in Loop: Header=BB24_4 Depth=1
	flat_load_b64 v[6:7], v[8:9]
	s_mov_b32 s10, 0
.LBB24_6:                               ;   in Loop: Header=BB24_4 Depth=1
	s_delay_alu instid0(SALU_CYCLE_1)
	s_and_not1_b32 vcc_lo, exec_lo, s10
	s_cbranch_vccnz .LBB24_3
; %bb.7:                                ;   in Loop: Header=BB24_4 Depth=1
	s_wait_loadcnt_dscnt 0x0
	flat_load_b64 v[6:7], v[8:9]
	s_wait_loadcnt_dscnt 0x0
	v_xor_b32_e32 v7, 0x80000000, v7
	s_branch .LBB24_3
.LBB24_8:
	v_dual_mov_b32 v0, 0 :: v_dual_mov_b32 v2, 0
.LBB24_9:
	s_load_b256 s[4:11], s[0:1], 0x68
	s_wait_kmcnt 0x0
	v_dual_mov_b32 v6, s2 :: v_dual_mov_b32 v7, s15
	v_mov_b64_e32 v[8:9], s[12:13]
	v_mul_lo_u32 v1, v1, s8
	s_mul_u64 s[0:1], s[10:11], s[16:17]
	s_delay_alu instid0(SALU_CYCLE_1) | instskip(NEXT) | instid1(SALU_CYCLE_1)
	s_lshl_b64 s[0:1], s[0:1], 3
	s_add_nc_u64 s[0:1], s[4:5], s[0:1]
	s_lshl_b64 s[4:5], s[6:7], 3
	s_delay_alu instid0(SALU_CYCLE_1) | instskip(SKIP_2) | instid1(VALU_DEP_1)
	s_add_nc_u64 s[0:1], s[0:1], s[4:5]
	s_mov_b32 s4, s15
	s_mov_b32 s5, s2
	v_mad_u32 v16, v3, s9, v1
	v_pk_mul_f32 v[0:1], v[6:7], v[0:1] op_sel_hi:[1,0]
	v_mov_b64_e32 v[6:7], s[4:5]
	s_delay_alu instid0(VALU_DEP_1) | instskip(SKIP_4) | instid1(VALU_DEP_1)
	v_pk_fma_f32 v[12:13], v[6:7], v[2:3], v[0:1] op_sel_hi:[1,0,1]
	v_pk_fma_f32 v[0:1], v[6:7], v[2:3], v[0:1] neg_lo:[0,0,1] neg_hi:[0,0,1]
	global_load_b64 v[4:5], v16, s[0:1] scale_offset
	s_wait_loadcnt 0x0
	v_pk_mul_f32 v[10:11], v[8:9], v[4:5] op_sel:[1,1] op_sel_hi:[0,1]
	v_pk_fma_f32 v[14:15], v[8:9], v[4:5], v[10:11] op_sel_hi:[1,0,1]
	v_pk_fma_f32 v[2:3], v[8:9], v[4:5], v[10:11] neg_lo:[0,0,1] neg_hi:[0,0,1]
	s_delay_alu instid0(VALU_DEP_2) | instskip(NEXT) | instid1(VALU_DEP_1)
	v_dual_mov_b32 v1, v13 :: v_dual_mov_b32 v3, v15
	v_pk_add_f32 v[0:1], v[0:1], v[2:3]
	global_store_b64 v16, v[0:1], s[0:1] scale_offset
.LBB24_10:
	s_endpgm
	.section	.rodata,"a",@progbits
	.p2align	6, 0x0
	.amdhsa_kernel _ZN9rocsolver6v33100L11gemm_kernelI19rocblas_complex_numIfEiS3_PKPS3_S4_S4_EEvT0_S7_S7_T1_bT2_lS7_S7_lbT3_lS7_S7_lS8_T4_lS7_S7_l
		.amdhsa_group_segment_fixed_size 0
		.amdhsa_private_segment_fixed_size 0
		.amdhsa_kernarg_size 392
		.amdhsa_user_sgpr_count 2
		.amdhsa_user_sgpr_dispatch_ptr 0
		.amdhsa_user_sgpr_queue_ptr 0
		.amdhsa_user_sgpr_kernarg_segment_ptr 1
		.amdhsa_user_sgpr_dispatch_id 0
		.amdhsa_user_sgpr_kernarg_preload_length 0
		.amdhsa_user_sgpr_kernarg_preload_offset 0
		.amdhsa_user_sgpr_private_segment_size 0
		.amdhsa_wavefront_size32 1
		.amdhsa_uses_dynamic_stack 0
		.amdhsa_enable_private_segment 0
		.amdhsa_system_sgpr_workgroup_id_x 1
		.amdhsa_system_sgpr_workgroup_id_y 1
		.amdhsa_system_sgpr_workgroup_id_z 1
		.amdhsa_system_sgpr_workgroup_info 0
		.amdhsa_system_vgpr_workitem_id 1
		.amdhsa_next_free_vgpr 17
		.amdhsa_next_free_sgpr 25
		.amdhsa_named_barrier_count 0
		.amdhsa_reserve_vcc 1
		.amdhsa_float_round_mode_32 0
		.amdhsa_float_round_mode_16_64 0
		.amdhsa_float_denorm_mode_32 3
		.amdhsa_float_denorm_mode_16_64 3
		.amdhsa_fp16_overflow 0
		.amdhsa_memory_ordered 1
		.amdhsa_forward_progress 1
		.amdhsa_inst_pref_size 6
		.amdhsa_round_robin_scheduling 0
		.amdhsa_exception_fp_ieee_invalid_op 0
		.amdhsa_exception_fp_denorm_src 0
		.amdhsa_exception_fp_ieee_div_zero 0
		.amdhsa_exception_fp_ieee_overflow 0
		.amdhsa_exception_fp_ieee_underflow 0
		.amdhsa_exception_fp_ieee_inexact 0
		.amdhsa_exception_int_div_zero 0
	.end_amdhsa_kernel
	.section	.text._ZN9rocsolver6v33100L11gemm_kernelI19rocblas_complex_numIfEiS3_PKPS3_S4_S4_EEvT0_S7_S7_T1_bT2_lS7_S7_lbT3_lS7_S7_lS8_T4_lS7_S7_l,"axG",@progbits,_ZN9rocsolver6v33100L11gemm_kernelI19rocblas_complex_numIfEiS3_PKPS3_S4_S4_EEvT0_S7_S7_T1_bT2_lS7_S7_lbT3_lS7_S7_lS8_T4_lS7_S7_l,comdat
.Lfunc_end24:
	.size	_ZN9rocsolver6v33100L11gemm_kernelI19rocblas_complex_numIfEiS3_PKPS3_S4_S4_EEvT0_S7_S7_T1_bT2_lS7_S7_lbT3_lS7_S7_lS8_T4_lS7_S7_l, .Lfunc_end24-_ZN9rocsolver6v33100L11gemm_kernelI19rocblas_complex_numIfEiS3_PKPS3_S4_S4_EEvT0_S7_S7_T1_bT2_lS7_S7_lbT3_lS7_S7_lS8_T4_lS7_S7_l
                                        ; -- End function
	.set _ZN9rocsolver6v33100L11gemm_kernelI19rocblas_complex_numIfEiS3_PKPS3_S4_S4_EEvT0_S7_S7_T1_bT2_lS7_S7_lbT3_lS7_S7_lS8_T4_lS7_S7_l.num_vgpr, 17
	.set _ZN9rocsolver6v33100L11gemm_kernelI19rocblas_complex_numIfEiS3_PKPS3_S4_S4_EEvT0_S7_S7_T1_bT2_lS7_S7_lbT3_lS7_S7_lS8_T4_lS7_S7_l.num_agpr, 0
	.set _ZN9rocsolver6v33100L11gemm_kernelI19rocblas_complex_numIfEiS3_PKPS3_S4_S4_EEvT0_S7_S7_T1_bT2_lS7_S7_lbT3_lS7_S7_lS8_T4_lS7_S7_l.numbered_sgpr, 25
	.set _ZN9rocsolver6v33100L11gemm_kernelI19rocblas_complex_numIfEiS3_PKPS3_S4_S4_EEvT0_S7_S7_T1_bT2_lS7_S7_lbT3_lS7_S7_lS8_T4_lS7_S7_l.num_named_barrier, 0
	.set _ZN9rocsolver6v33100L11gemm_kernelI19rocblas_complex_numIfEiS3_PKPS3_S4_S4_EEvT0_S7_S7_T1_bT2_lS7_S7_lbT3_lS7_S7_lS8_T4_lS7_S7_l.private_seg_size, 0
	.set _ZN9rocsolver6v33100L11gemm_kernelI19rocblas_complex_numIfEiS3_PKPS3_S4_S4_EEvT0_S7_S7_T1_bT2_lS7_S7_lbT3_lS7_S7_lS8_T4_lS7_S7_l.uses_vcc, 1
	.set _ZN9rocsolver6v33100L11gemm_kernelI19rocblas_complex_numIfEiS3_PKPS3_S4_S4_EEvT0_S7_S7_T1_bT2_lS7_S7_lbT3_lS7_S7_lS8_T4_lS7_S7_l.uses_flat_scratch, 0
	.set _ZN9rocsolver6v33100L11gemm_kernelI19rocblas_complex_numIfEiS3_PKPS3_S4_S4_EEvT0_S7_S7_T1_bT2_lS7_S7_lbT3_lS7_S7_lS8_T4_lS7_S7_l.has_dyn_sized_stack, 0
	.set _ZN9rocsolver6v33100L11gemm_kernelI19rocblas_complex_numIfEiS3_PKPS3_S4_S4_EEvT0_S7_S7_T1_bT2_lS7_S7_lbT3_lS7_S7_lS8_T4_lS7_S7_l.has_recursion, 0
	.set _ZN9rocsolver6v33100L11gemm_kernelI19rocblas_complex_numIfEiS3_PKPS3_S4_S4_EEvT0_S7_S7_T1_bT2_lS7_S7_lbT3_lS7_S7_lS8_T4_lS7_S7_l.has_indirect_call, 0
	.section	.AMDGPU.csdata,"",@progbits
; Kernel info:
; codeLenInByte = 764
; TotalNumSgprs: 27
; NumVgprs: 17
; ScratchSize: 0
; MemoryBound: 0
; FloatMode: 240
; IeeeMode: 1
; LDSByteSize: 0 bytes/workgroup (compile time only)
; SGPRBlocks: 0
; VGPRBlocks: 1
; NumSGPRsForWavesPerEU: 27
; NumVGPRsForWavesPerEU: 17
; NamedBarCnt: 0
; Occupancy: 16
; WaveLimiterHint : 1
; COMPUTE_PGM_RSRC2:SCRATCH_EN: 0
; COMPUTE_PGM_RSRC2:USER_SGPR: 2
; COMPUTE_PGM_RSRC2:TRAP_HANDLER: 0
; COMPUTE_PGM_RSRC2:TGID_X_EN: 1
; COMPUTE_PGM_RSRC2:TGID_Y_EN: 1
; COMPUTE_PGM_RSRC2:TGID_Z_EN: 1
; COMPUTE_PGM_RSRC2:TIDIG_COMP_CNT: 1
	.section	.text._ZN9rocsolver6v33100L16mfma_gemm_kernelI19rocblas_complex_numIfEiPKS3_PS3_PKS6_S6_EEv18rocblas_operation_S9_T0_SA_SA_T1_T2_lSA_SA_lT3_lSA_SA_lSB_T4_lSA_SA_l,"axG",@progbits,_ZN9rocsolver6v33100L16mfma_gemm_kernelI19rocblas_complex_numIfEiPKS3_PS3_PKS6_S6_EEv18rocblas_operation_S9_T0_SA_SA_T1_T2_lSA_SA_lT3_lSA_SA_lSB_T4_lSA_SA_l,comdat
	.globl	_ZN9rocsolver6v33100L16mfma_gemm_kernelI19rocblas_complex_numIfEiPKS3_PS3_PKS6_S6_EEv18rocblas_operation_S9_T0_SA_SA_T1_T2_lSA_SA_lT3_lSA_SA_lSB_T4_lSA_SA_l ; -- Begin function _ZN9rocsolver6v33100L16mfma_gemm_kernelI19rocblas_complex_numIfEiPKS3_PS3_PKS6_S6_EEv18rocblas_operation_S9_T0_SA_SA_T1_T2_lSA_SA_lT3_lSA_SA_lSB_T4_lSA_SA_l
	.p2align	8
	.type	_ZN9rocsolver6v33100L16mfma_gemm_kernelI19rocblas_complex_numIfEiPKS3_PS3_PKS6_S6_EEv18rocblas_operation_S9_T0_SA_SA_T1_T2_lSA_SA_lT3_lSA_SA_lSB_T4_lSA_SA_l,@function
_ZN9rocsolver6v33100L16mfma_gemm_kernelI19rocblas_complex_numIfEiPKS3_PS3_PKS6_S6_EEv18rocblas_operation_S9_T0_SA_SA_T1_T2_lSA_SA_lT3_lSA_SA_lSB_T4_lSA_SA_l: ; @_ZN9rocsolver6v33100L16mfma_gemm_kernelI19rocblas_complex_numIfEiPKS3_PS3_PKS6_S6_EEv18rocblas_operation_S9_T0_SA_SA_T1_T2_lSA_SA_lT3_lSA_SA_lSB_T4_lSA_SA_l
; %bb.0:
	s_endpgm
	.section	.rodata,"a",@progbits
	.p2align	6, 0x0
	.amdhsa_kernel _ZN9rocsolver6v33100L16mfma_gemm_kernelI19rocblas_complex_numIfEiPKS3_PS3_PKS6_S6_EEv18rocblas_operation_S9_T0_SA_SA_T1_T2_lSA_SA_lT3_lSA_SA_lSB_T4_lSA_SA_l
		.amdhsa_group_segment_fixed_size 0
		.amdhsa_private_segment_fixed_size 0
		.amdhsa_kernarg_size 136
		.amdhsa_user_sgpr_count 2
		.amdhsa_user_sgpr_dispatch_ptr 0
		.amdhsa_user_sgpr_queue_ptr 0
		.amdhsa_user_sgpr_kernarg_segment_ptr 1
		.amdhsa_user_sgpr_dispatch_id 0
		.amdhsa_user_sgpr_kernarg_preload_length 0
		.amdhsa_user_sgpr_kernarg_preload_offset 0
		.amdhsa_user_sgpr_private_segment_size 0
		.amdhsa_wavefront_size32 1
		.amdhsa_uses_dynamic_stack 0
		.amdhsa_enable_private_segment 0
		.amdhsa_system_sgpr_workgroup_id_x 1
		.amdhsa_system_sgpr_workgroup_id_y 0
		.amdhsa_system_sgpr_workgroup_id_z 0
		.amdhsa_system_sgpr_workgroup_info 0
		.amdhsa_system_vgpr_workitem_id 0
		.amdhsa_next_free_vgpr 1
		.amdhsa_next_free_sgpr 1
		.amdhsa_named_barrier_count 0
		.amdhsa_reserve_vcc 0
		.amdhsa_float_round_mode_32 0
		.amdhsa_float_round_mode_16_64 0
		.amdhsa_float_denorm_mode_32 3
		.amdhsa_float_denorm_mode_16_64 3
		.amdhsa_fp16_overflow 0
		.amdhsa_memory_ordered 1
		.amdhsa_forward_progress 1
		.amdhsa_inst_pref_size 1
		.amdhsa_round_robin_scheduling 0
		.amdhsa_exception_fp_ieee_invalid_op 0
		.amdhsa_exception_fp_denorm_src 0
		.amdhsa_exception_fp_ieee_div_zero 0
		.amdhsa_exception_fp_ieee_overflow 0
		.amdhsa_exception_fp_ieee_underflow 0
		.amdhsa_exception_fp_ieee_inexact 0
		.amdhsa_exception_int_div_zero 0
	.end_amdhsa_kernel
	.section	.text._ZN9rocsolver6v33100L16mfma_gemm_kernelI19rocblas_complex_numIfEiPKS3_PS3_PKS6_S6_EEv18rocblas_operation_S9_T0_SA_SA_T1_T2_lSA_SA_lT3_lSA_SA_lSB_T4_lSA_SA_l,"axG",@progbits,_ZN9rocsolver6v33100L16mfma_gemm_kernelI19rocblas_complex_numIfEiPKS3_PS3_PKS6_S6_EEv18rocblas_operation_S9_T0_SA_SA_T1_T2_lSA_SA_lT3_lSA_SA_lSB_T4_lSA_SA_l,comdat
.Lfunc_end25:
	.size	_ZN9rocsolver6v33100L16mfma_gemm_kernelI19rocblas_complex_numIfEiPKS3_PS3_PKS6_S6_EEv18rocblas_operation_S9_T0_SA_SA_T1_T2_lSA_SA_lT3_lSA_SA_lSB_T4_lSA_SA_l, .Lfunc_end25-_ZN9rocsolver6v33100L16mfma_gemm_kernelI19rocblas_complex_numIfEiPKS3_PS3_PKS6_S6_EEv18rocblas_operation_S9_T0_SA_SA_T1_T2_lSA_SA_lT3_lSA_SA_lSB_T4_lSA_SA_l
                                        ; -- End function
	.set _ZN9rocsolver6v33100L16mfma_gemm_kernelI19rocblas_complex_numIfEiPKS3_PS3_PKS6_S6_EEv18rocblas_operation_S9_T0_SA_SA_T1_T2_lSA_SA_lT3_lSA_SA_lSB_T4_lSA_SA_l.num_vgpr, 0
	.set _ZN9rocsolver6v33100L16mfma_gemm_kernelI19rocblas_complex_numIfEiPKS3_PS3_PKS6_S6_EEv18rocblas_operation_S9_T0_SA_SA_T1_T2_lSA_SA_lT3_lSA_SA_lSB_T4_lSA_SA_l.num_agpr, 0
	.set _ZN9rocsolver6v33100L16mfma_gemm_kernelI19rocblas_complex_numIfEiPKS3_PS3_PKS6_S6_EEv18rocblas_operation_S9_T0_SA_SA_T1_T2_lSA_SA_lT3_lSA_SA_lSB_T4_lSA_SA_l.numbered_sgpr, 0
	.set _ZN9rocsolver6v33100L16mfma_gemm_kernelI19rocblas_complex_numIfEiPKS3_PS3_PKS6_S6_EEv18rocblas_operation_S9_T0_SA_SA_T1_T2_lSA_SA_lT3_lSA_SA_lSB_T4_lSA_SA_l.num_named_barrier, 0
	.set _ZN9rocsolver6v33100L16mfma_gemm_kernelI19rocblas_complex_numIfEiPKS3_PS3_PKS6_S6_EEv18rocblas_operation_S9_T0_SA_SA_T1_T2_lSA_SA_lT3_lSA_SA_lSB_T4_lSA_SA_l.private_seg_size, 0
	.set _ZN9rocsolver6v33100L16mfma_gemm_kernelI19rocblas_complex_numIfEiPKS3_PS3_PKS6_S6_EEv18rocblas_operation_S9_T0_SA_SA_T1_T2_lSA_SA_lT3_lSA_SA_lSB_T4_lSA_SA_l.uses_vcc, 0
	.set _ZN9rocsolver6v33100L16mfma_gemm_kernelI19rocblas_complex_numIfEiPKS3_PS3_PKS6_S6_EEv18rocblas_operation_S9_T0_SA_SA_T1_T2_lSA_SA_lT3_lSA_SA_lSB_T4_lSA_SA_l.uses_flat_scratch, 0
	.set _ZN9rocsolver6v33100L16mfma_gemm_kernelI19rocblas_complex_numIfEiPKS3_PS3_PKS6_S6_EEv18rocblas_operation_S9_T0_SA_SA_T1_T2_lSA_SA_lT3_lSA_SA_lSB_T4_lSA_SA_l.has_dyn_sized_stack, 0
	.set _ZN9rocsolver6v33100L16mfma_gemm_kernelI19rocblas_complex_numIfEiPKS3_PS3_PKS6_S6_EEv18rocblas_operation_S9_T0_SA_SA_T1_T2_lSA_SA_lT3_lSA_SA_lSB_T4_lSA_SA_l.has_recursion, 0
	.set _ZN9rocsolver6v33100L16mfma_gemm_kernelI19rocblas_complex_numIfEiPKS3_PS3_PKS6_S6_EEv18rocblas_operation_S9_T0_SA_SA_T1_T2_lSA_SA_lT3_lSA_SA_lSB_T4_lSA_SA_l.has_indirect_call, 0
	.section	.AMDGPU.csdata,"",@progbits
; Kernel info:
; codeLenInByte = 4
; TotalNumSgprs: 0
; NumVgprs: 0
; ScratchSize: 0
; MemoryBound: 0
; FloatMode: 240
; IeeeMode: 1
; LDSByteSize: 0 bytes/workgroup (compile time only)
; SGPRBlocks: 0
; VGPRBlocks: 0
; NumSGPRsForWavesPerEU: 1
; NumVGPRsForWavesPerEU: 1
; NamedBarCnt: 0
; Occupancy: 16
; WaveLimiterHint : 0
; COMPUTE_PGM_RSRC2:SCRATCH_EN: 0
; COMPUTE_PGM_RSRC2:USER_SGPR: 2
; COMPUTE_PGM_RSRC2:TRAP_HANDLER: 0
; COMPUTE_PGM_RSRC2:TGID_X_EN: 1
; COMPUTE_PGM_RSRC2:TGID_Y_EN: 0
; COMPUTE_PGM_RSRC2:TGID_Z_EN: 0
; COMPUTE_PGM_RSRC2:TIDIG_COMP_CNT: 0
	.section	.text._ZN9rocsolver6v33100L16mfma_gemm_kernelI19rocblas_complex_numIfEiS3_PS3_PKS4_S4_EEv18rocblas_operation_S7_T0_S8_S8_T1_T2_lS8_S8_lT3_lS8_S8_lS9_T4_lS8_S8_l,"axG",@progbits,_ZN9rocsolver6v33100L16mfma_gemm_kernelI19rocblas_complex_numIfEiS3_PS3_PKS4_S4_EEv18rocblas_operation_S7_T0_S8_S8_T1_T2_lS8_S8_lT3_lS8_S8_lS9_T4_lS8_S8_l,comdat
	.globl	_ZN9rocsolver6v33100L16mfma_gemm_kernelI19rocblas_complex_numIfEiS3_PS3_PKS4_S4_EEv18rocblas_operation_S7_T0_S8_S8_T1_T2_lS8_S8_lT3_lS8_S8_lS9_T4_lS8_S8_l ; -- Begin function _ZN9rocsolver6v33100L16mfma_gemm_kernelI19rocblas_complex_numIfEiS3_PS3_PKS4_S4_EEv18rocblas_operation_S7_T0_S8_S8_T1_T2_lS8_S8_lT3_lS8_S8_lS9_T4_lS8_S8_l
	.p2align	8
	.type	_ZN9rocsolver6v33100L16mfma_gemm_kernelI19rocblas_complex_numIfEiS3_PS3_PKS4_S4_EEv18rocblas_operation_S7_T0_S8_S8_T1_T2_lS8_S8_lT3_lS8_S8_lS9_T4_lS8_S8_l,@function
_ZN9rocsolver6v33100L16mfma_gemm_kernelI19rocblas_complex_numIfEiS3_PS3_PKS4_S4_EEv18rocblas_operation_S7_T0_S8_S8_T1_T2_lS8_S8_lT3_lS8_S8_lS9_T4_lS8_S8_l: ; @_ZN9rocsolver6v33100L16mfma_gemm_kernelI19rocblas_complex_numIfEiS3_PS3_PKS4_S4_EEv18rocblas_operation_S7_T0_S8_S8_T1_T2_lS8_S8_lT3_lS8_S8_lS9_T4_lS8_S8_l
; %bb.0:
	s_endpgm
	.section	.rodata,"a",@progbits
	.p2align	6, 0x0
	.amdhsa_kernel _ZN9rocsolver6v33100L16mfma_gemm_kernelI19rocblas_complex_numIfEiS3_PS3_PKS4_S4_EEv18rocblas_operation_S7_T0_S8_S8_T1_T2_lS8_S8_lT3_lS8_S8_lS9_T4_lS8_S8_l
		.amdhsa_group_segment_fixed_size 0
		.amdhsa_private_segment_fixed_size 0
		.amdhsa_kernarg_size 136
		.amdhsa_user_sgpr_count 2
		.amdhsa_user_sgpr_dispatch_ptr 0
		.amdhsa_user_sgpr_queue_ptr 0
		.amdhsa_user_sgpr_kernarg_segment_ptr 1
		.amdhsa_user_sgpr_dispatch_id 0
		.amdhsa_user_sgpr_kernarg_preload_length 0
		.amdhsa_user_sgpr_kernarg_preload_offset 0
		.amdhsa_user_sgpr_private_segment_size 0
		.amdhsa_wavefront_size32 1
		.amdhsa_uses_dynamic_stack 0
		.amdhsa_enable_private_segment 0
		.amdhsa_system_sgpr_workgroup_id_x 1
		.amdhsa_system_sgpr_workgroup_id_y 0
		.amdhsa_system_sgpr_workgroup_id_z 0
		.amdhsa_system_sgpr_workgroup_info 0
		.amdhsa_system_vgpr_workitem_id 0
		.amdhsa_next_free_vgpr 1
		.amdhsa_next_free_sgpr 1
		.amdhsa_named_barrier_count 0
		.amdhsa_reserve_vcc 0
		.amdhsa_float_round_mode_32 0
		.amdhsa_float_round_mode_16_64 0
		.amdhsa_float_denorm_mode_32 3
		.amdhsa_float_denorm_mode_16_64 3
		.amdhsa_fp16_overflow 0
		.amdhsa_memory_ordered 1
		.amdhsa_forward_progress 1
		.amdhsa_inst_pref_size 1
		.amdhsa_round_robin_scheduling 0
		.amdhsa_exception_fp_ieee_invalid_op 0
		.amdhsa_exception_fp_denorm_src 0
		.amdhsa_exception_fp_ieee_div_zero 0
		.amdhsa_exception_fp_ieee_overflow 0
		.amdhsa_exception_fp_ieee_underflow 0
		.amdhsa_exception_fp_ieee_inexact 0
		.amdhsa_exception_int_div_zero 0
	.end_amdhsa_kernel
	.section	.text._ZN9rocsolver6v33100L16mfma_gemm_kernelI19rocblas_complex_numIfEiS3_PS3_PKS4_S4_EEv18rocblas_operation_S7_T0_S8_S8_T1_T2_lS8_S8_lT3_lS8_S8_lS9_T4_lS8_S8_l,"axG",@progbits,_ZN9rocsolver6v33100L16mfma_gemm_kernelI19rocblas_complex_numIfEiS3_PS3_PKS4_S4_EEv18rocblas_operation_S7_T0_S8_S8_T1_T2_lS8_S8_lT3_lS8_S8_lS9_T4_lS8_S8_l,comdat
.Lfunc_end26:
	.size	_ZN9rocsolver6v33100L16mfma_gemm_kernelI19rocblas_complex_numIfEiS3_PS3_PKS4_S4_EEv18rocblas_operation_S7_T0_S8_S8_T1_T2_lS8_S8_lT3_lS8_S8_lS9_T4_lS8_S8_l, .Lfunc_end26-_ZN9rocsolver6v33100L16mfma_gemm_kernelI19rocblas_complex_numIfEiS3_PS3_PKS4_S4_EEv18rocblas_operation_S7_T0_S8_S8_T1_T2_lS8_S8_lT3_lS8_S8_lS9_T4_lS8_S8_l
                                        ; -- End function
	.set _ZN9rocsolver6v33100L16mfma_gemm_kernelI19rocblas_complex_numIfEiS3_PS3_PKS4_S4_EEv18rocblas_operation_S7_T0_S8_S8_T1_T2_lS8_S8_lT3_lS8_S8_lS9_T4_lS8_S8_l.num_vgpr, 0
	.set _ZN9rocsolver6v33100L16mfma_gemm_kernelI19rocblas_complex_numIfEiS3_PS3_PKS4_S4_EEv18rocblas_operation_S7_T0_S8_S8_T1_T2_lS8_S8_lT3_lS8_S8_lS9_T4_lS8_S8_l.num_agpr, 0
	.set _ZN9rocsolver6v33100L16mfma_gemm_kernelI19rocblas_complex_numIfEiS3_PS3_PKS4_S4_EEv18rocblas_operation_S7_T0_S8_S8_T1_T2_lS8_S8_lT3_lS8_S8_lS9_T4_lS8_S8_l.numbered_sgpr, 0
	.set _ZN9rocsolver6v33100L16mfma_gemm_kernelI19rocblas_complex_numIfEiS3_PS3_PKS4_S4_EEv18rocblas_operation_S7_T0_S8_S8_T1_T2_lS8_S8_lT3_lS8_S8_lS9_T4_lS8_S8_l.num_named_barrier, 0
	.set _ZN9rocsolver6v33100L16mfma_gemm_kernelI19rocblas_complex_numIfEiS3_PS3_PKS4_S4_EEv18rocblas_operation_S7_T0_S8_S8_T1_T2_lS8_S8_lT3_lS8_S8_lS9_T4_lS8_S8_l.private_seg_size, 0
	.set _ZN9rocsolver6v33100L16mfma_gemm_kernelI19rocblas_complex_numIfEiS3_PS3_PKS4_S4_EEv18rocblas_operation_S7_T0_S8_S8_T1_T2_lS8_S8_lT3_lS8_S8_lS9_T4_lS8_S8_l.uses_vcc, 0
	.set _ZN9rocsolver6v33100L16mfma_gemm_kernelI19rocblas_complex_numIfEiS3_PS3_PKS4_S4_EEv18rocblas_operation_S7_T0_S8_S8_T1_T2_lS8_S8_lT3_lS8_S8_lS9_T4_lS8_S8_l.uses_flat_scratch, 0
	.set _ZN9rocsolver6v33100L16mfma_gemm_kernelI19rocblas_complex_numIfEiS3_PS3_PKS4_S4_EEv18rocblas_operation_S7_T0_S8_S8_T1_T2_lS8_S8_lT3_lS8_S8_lS9_T4_lS8_S8_l.has_dyn_sized_stack, 0
	.set _ZN9rocsolver6v33100L16mfma_gemm_kernelI19rocblas_complex_numIfEiS3_PS3_PKS4_S4_EEv18rocblas_operation_S7_T0_S8_S8_T1_T2_lS8_S8_lT3_lS8_S8_lS9_T4_lS8_S8_l.has_recursion, 0
	.set _ZN9rocsolver6v33100L16mfma_gemm_kernelI19rocblas_complex_numIfEiS3_PS3_PKS4_S4_EEv18rocblas_operation_S7_T0_S8_S8_T1_T2_lS8_S8_lT3_lS8_S8_lS9_T4_lS8_S8_l.has_indirect_call, 0
	.section	.AMDGPU.csdata,"",@progbits
; Kernel info:
; codeLenInByte = 4
; TotalNumSgprs: 0
; NumVgprs: 0
; ScratchSize: 0
; MemoryBound: 0
; FloatMode: 240
; IeeeMode: 1
; LDSByteSize: 0 bytes/workgroup (compile time only)
; SGPRBlocks: 0
; VGPRBlocks: 0
; NumSGPRsForWavesPerEU: 1
; NumVGPRsForWavesPerEU: 1
; NamedBarCnt: 0
; Occupancy: 16
; WaveLimiterHint : 0
; COMPUTE_PGM_RSRC2:SCRATCH_EN: 0
; COMPUTE_PGM_RSRC2:USER_SGPR: 2
; COMPUTE_PGM_RSRC2:TRAP_HANDLER: 0
; COMPUTE_PGM_RSRC2:TGID_X_EN: 1
; COMPUTE_PGM_RSRC2:TGID_Y_EN: 0
; COMPUTE_PGM_RSRC2:TGID_Z_EN: 0
; COMPUTE_PGM_RSRC2:TIDIG_COMP_CNT: 0
	.section	.text._ZN9rocsolver6v33100L11gemm_kernelI19rocblas_complex_numIfEiPKS3_PS3_PKS6_S6_EEvT0_S9_S9_T1_bT2_lS9_S9_lbT3_lS9_S9_lSA_T4_lS9_S9_l,"axG",@progbits,_ZN9rocsolver6v33100L11gemm_kernelI19rocblas_complex_numIfEiPKS3_PS3_PKS6_S6_EEvT0_S9_S9_T1_bT2_lS9_S9_lbT3_lS9_S9_lSA_T4_lS9_S9_l,comdat
	.globl	_ZN9rocsolver6v33100L11gemm_kernelI19rocblas_complex_numIfEiPKS3_PS3_PKS6_S6_EEvT0_S9_S9_T1_bT2_lS9_S9_lbT3_lS9_S9_lSA_T4_lS9_S9_l ; -- Begin function _ZN9rocsolver6v33100L11gemm_kernelI19rocblas_complex_numIfEiPKS3_PS3_PKS6_S6_EEvT0_S9_S9_T1_bT2_lS9_S9_lbT3_lS9_S9_lSA_T4_lS9_S9_l
	.p2align	8
	.type	_ZN9rocsolver6v33100L11gemm_kernelI19rocblas_complex_numIfEiPKS3_PS3_PKS6_S6_EEvT0_S9_S9_T1_bT2_lS9_S9_lbT3_lS9_S9_lSA_T4_lS9_S9_l,@function
_ZN9rocsolver6v33100L11gemm_kernelI19rocblas_complex_numIfEiPKS3_PS3_PKS6_S6_EEvT0_S9_S9_T1_bT2_lS9_S9_lbT3_lS9_S9_lSA_T4_lS9_S9_l: ; @_ZN9rocsolver6v33100L11gemm_kernelI19rocblas_complex_numIfEiPKS3_PS3_PKS6_S6_EEvT0_S9_S9_T1_bT2_lS9_S9_lbT3_lS9_S9_lSA_T4_lS9_S9_l
; %bb.0:
	s_clause 0x1
	s_load_b32 s2, s[0:1], 0x9c
	s_load_b96 s[16:18], s[0:1], 0x0
	s_bfe_u32 s5, ttmp6, 0x4000c
	s_bfe_u32 s7, ttmp6, 0x40010
	s_and_b32 s6, ttmp7, 0xffff
	s_add_co_i32 s5, s5, 1
	s_add_co_i32 s7, s7, 1
	s_and_b32 s3, ttmp6, 15
	s_bfe_u32 s8, ttmp6, 0x40004
	s_mul_i32 s5, ttmp9, s5
	s_mul_i32 s7, s6, s7
	s_getreg_b32 s4, hwreg(HW_REG_IB_STS2, 6, 4)
	v_bfe_u32 v2, v0, 10, 10
	v_and_b32_e32 v0, 0x3ff, v0
	s_add_co_i32 s3, s3, s5
	s_add_co_i32 s8, s8, s7
	s_wait_kmcnt 0x0
	s_and_b32 s5, s2, 0xffff
	s_lshr_b32 s2, s2, 16
	s_cmp_eq_u32 s4, 0
	s_cselect_b32 s3, ttmp9, s3
	s_cselect_b32 s6, s6, s8
	v_mad_u32 v1, s3, s5, v0
	v_mad_u32 v3, s6, s2, v2
	s_mov_b32 s3, 0
	s_delay_alu instid0(VALU_DEP_2) | instskip(NEXT) | instid1(VALU_DEP_2)
	v_cmp_gt_i32_e32 vcc_lo, s16, v1
	v_cmp_gt_i32_e64 s2, s17, v3
	s_and_b32 s2, vcc_lo, s2
	s_delay_alu instid0(SALU_CYCLE_1)
	s_and_saveexec_b32 s5, s2
	s_cbranch_execz .LBB27_10
; %bb.1:
	s_clause 0x2
	s_load_b64 s[6:7], s[0:1], 0x10
	s_load_b128 s[12:15], s[0:1], 0x68
	s_load_b64 s[20:21], s[0:1], 0x78
	s_bfe_u32 s2, ttmp6, 0x40014
	s_lshr_b32 s5, ttmp7, 16
	s_add_co_i32 s2, s2, 1
	s_wait_kmcnt 0x0
	s_load_b64 s[22:23], s[6:7], 0x0
	s_load_b64 s[16:17], s[12:13], 0x0
	s_mul_i32 s2, s5, s2
	s_wait_xcnt 0x0
	s_bfe_u32 s6, ttmp6, 0x40008
	s_delay_alu instid0(SALU_CYCLE_1)
	s_add_co_i32 s6, s6, s2
	s_cmp_eq_u32 s4, 0
	s_cselect_b32 s2, s5, s6
	s_cmp_lt_i32 s18, 1
	s_cbranch_scc1 .LBB27_8
; %bb.2:
	s_clause 0x4
	s_load_b128 s[24:27], s[0:1], 0x48
	s_load_b32 s19, s[0:1], 0x18
	s_load_b32 s30, s[0:1], 0x40
	s_load_b256 s[4:11], s[0:1], 0x20
	s_load_b64 s[12:13], s[0:1], 0x58
	v_dual_mov_b32 v0, 0 :: v_dual_mov_b32 v2, 0
	s_wait_kmcnt 0x0
	s_load_b64 s[28:29], s[24:25], s2 offset:0x0 scale_offset
	s_bitcmp1_b32 s19, 0
	s_cselect_b32 s19, -1, 0
	v_mul_lo_u32 v4, v1, s8
	v_mul_lo_u32 v10, v3, s13
	s_xor_b32 s19, s19, -1
	s_bitcmp1_b32 s30, 0
	s_mul_u64 s[10:11], s[10:11], s[2:3]
	s_wait_xcnt 0x0
	s_cselect_b32 s24, -1, 0
	s_lshl_b64 s[10:11], s[10:11], 3
	s_lshl_b64 s[6:7], s[6:7], 3
	s_add_nc_u64 s[4:5], s[4:5], s[10:11]
	s_lshl_b64 s[10:11], s[26:27], 3
	s_add_nc_u64 s[4:5], s[4:5], s[6:7]
	s_wait_kmcnt 0x0
	s_add_nc_u64 s[6:7], s[28:29], s[10:11]
	s_branch .LBB27_4
.LBB27_3:                               ;   in Loop: Header=BB27_4 Depth=1
	flat_load_b64 v[8:9], v10, s[6:7] scale_offset
	s_add_co_i32 s18, s18, -1
	v_add_nc_u32_e32 v4, s9, v4
	s_cmp_eq_u32 s18, 0
	s_wait_loadcnt_dscnt 0x0
	v_dual_cndmask_b32 v5, v9, -v9, s24 :: v_dual_mul_f32 v9, v7, v8
	s_delay_alu instid0(VALU_DEP_1) | instskip(SKIP_1) | instid1(VALU_DEP_2)
	v_dual_mul_f32 v7, v7, v5 :: v_dual_fmac_f32 v9, v5, v6
	v_add_nc_u32_e32 v10, s12, v10
	v_fma_f32 v5, v8, v6, -v7
	s_delay_alu instid0(VALU_DEP_3) | instskip(NEXT) | instid1(VALU_DEP_2)
	v_add_f32_e32 v0, v0, v9
	v_add_f32_e32 v2, v2, v5
	s_cbranch_scc1 .LBB27_9
.LBB27_4:                               ; =>This Inner Loop Header: Depth=1
	v_ashrrev_i32_e32 v5, 31, v4
	s_and_b32 vcc_lo, exec_lo, s19
	s_mov_b32 s8, -1
                                        ; implicit-def: $vgpr7
	s_delay_alu instid0(VALU_DEP_1)
	v_lshl_add_u64 v[8:9], v[4:5], 3, s[4:5]
	s_cbranch_vccz .LBB27_6
; %bb.5:                                ;   in Loop: Header=BB27_4 Depth=1
	global_load_b64 v[6:7], v[8:9], off
	s_mov_b32 s8, 0
.LBB27_6:                               ;   in Loop: Header=BB27_4 Depth=1
	s_delay_alu instid0(SALU_CYCLE_1)
	s_and_not1_b32 vcc_lo, exec_lo, s8
	s_cbranch_vccnz .LBB27_3
; %bb.7:                                ;   in Loop: Header=BB27_4 Depth=1
	s_wait_loadcnt 0x0
	global_load_b64 v[6:7], v[8:9], off
	s_wait_loadcnt 0x0
	v_xor_b32_e32 v7, 0x80000000, v7
	s_branch .LBB27_3
.LBB27_8:
	v_dual_mov_b32 v0, 0 :: v_dual_mov_b32 v2, 0
.LBB27_9:
	s_load_b128 s[4:7], s[0:1], 0x80
	s_wait_kmcnt 0x0
	v_mov_b64_e32 v[6:7], s[22:23]
	v_mov_b64_e32 v[8:9], s[16:17]
	v_mul_lo_u32 v1, v1, s4
	s_mul_u64 s[0:1], s[6:7], s[2:3]
	s_lshl_b64 s[2:3], s[20:21], 3
	s_lshl_b64 s[0:1], s[0:1], 3
	s_delay_alu instid0(SALU_CYCLE_1) | instskip(NEXT) | instid1(SALU_CYCLE_1)
	s_add_nc_u64 s[0:1], s[14:15], s[0:1]
	s_add_nc_u64 s[0:1], s[0:1], s[2:3]
	s_delay_alu instid0(VALU_DEP_1) | instskip(SKIP_1) | instid1(VALU_DEP_1)
	v_mad_u32 v16, v3, s5, v1
	v_pk_mul_f32 v[0:1], v[6:7], v[0:1] op_sel:[1,0] op_sel_hi:[0,0]
	v_pk_fma_f32 v[12:13], v[6:7], v[2:3], v[0:1] op_sel_hi:[1,0,1]
	v_pk_fma_f32 v[0:1], v[6:7], v[2:3], v[0:1] neg_lo:[0,0,1] neg_hi:[0,0,1]
	global_load_b64 v[4:5], v16, s[0:1] scale_offset
	s_wait_loadcnt 0x0
	v_pk_mul_f32 v[10:11], v[8:9], v[4:5] op_sel:[1,1] op_sel_hi:[0,1]
	s_delay_alu instid0(VALU_DEP_1) | instskip(SKIP_1) | instid1(VALU_DEP_2)
	v_pk_fma_f32 v[14:15], v[8:9], v[4:5], v[10:11] op_sel_hi:[1,0,1]
	v_pk_fma_f32 v[2:3], v[8:9], v[4:5], v[10:11] neg_lo:[0,0,1] neg_hi:[0,0,1]
	v_dual_mov_b32 v1, v13 :: v_dual_mov_b32 v3, v15
	s_delay_alu instid0(VALU_DEP_1)
	v_pk_add_f32 v[0:1], v[0:1], v[2:3]
	global_store_b64 v16, v[0:1], s[0:1] scale_offset
.LBB27_10:
	s_endpgm
	.section	.rodata,"a",@progbits
	.p2align	6, 0x0
	.amdhsa_kernel _ZN9rocsolver6v33100L11gemm_kernelI19rocblas_complex_numIfEiPKS3_PS3_PKS6_S6_EEvT0_S9_S9_T1_bT2_lS9_S9_lbT3_lS9_S9_lSA_T4_lS9_S9_l
		.amdhsa_group_segment_fixed_size 0
		.amdhsa_private_segment_fixed_size 0
		.amdhsa_kernarg_size 400
		.amdhsa_user_sgpr_count 2
		.amdhsa_user_sgpr_dispatch_ptr 0
		.amdhsa_user_sgpr_queue_ptr 0
		.amdhsa_user_sgpr_kernarg_segment_ptr 1
		.amdhsa_user_sgpr_dispatch_id 0
		.amdhsa_user_sgpr_kernarg_preload_length 0
		.amdhsa_user_sgpr_kernarg_preload_offset 0
		.amdhsa_user_sgpr_private_segment_size 0
		.amdhsa_wavefront_size32 1
		.amdhsa_uses_dynamic_stack 0
		.amdhsa_enable_private_segment 0
		.amdhsa_system_sgpr_workgroup_id_x 1
		.amdhsa_system_sgpr_workgroup_id_y 1
		.amdhsa_system_sgpr_workgroup_id_z 1
		.amdhsa_system_sgpr_workgroup_info 0
		.amdhsa_system_vgpr_workitem_id 1
		.amdhsa_next_free_vgpr 17
		.amdhsa_next_free_sgpr 31
		.amdhsa_named_barrier_count 0
		.amdhsa_reserve_vcc 1
		.amdhsa_float_round_mode_32 0
		.amdhsa_float_round_mode_16_64 0
		.amdhsa_float_denorm_mode_32 3
		.amdhsa_float_denorm_mode_16_64 3
		.amdhsa_fp16_overflow 0
		.amdhsa_memory_ordered 1
		.amdhsa_forward_progress 1
		.amdhsa_inst_pref_size 7
		.amdhsa_round_robin_scheduling 0
		.amdhsa_exception_fp_ieee_invalid_op 0
		.amdhsa_exception_fp_denorm_src 0
		.amdhsa_exception_fp_ieee_div_zero 0
		.amdhsa_exception_fp_ieee_overflow 0
		.amdhsa_exception_fp_ieee_underflow 0
		.amdhsa_exception_fp_ieee_inexact 0
		.amdhsa_exception_int_div_zero 0
	.end_amdhsa_kernel
	.section	.text._ZN9rocsolver6v33100L11gemm_kernelI19rocblas_complex_numIfEiPKS3_PS3_PKS6_S6_EEvT0_S9_S9_T1_bT2_lS9_S9_lbT3_lS9_S9_lSA_T4_lS9_S9_l,"axG",@progbits,_ZN9rocsolver6v33100L11gemm_kernelI19rocblas_complex_numIfEiPKS3_PS3_PKS6_S6_EEvT0_S9_S9_T1_bT2_lS9_S9_lbT3_lS9_S9_lSA_T4_lS9_S9_l,comdat
.Lfunc_end27:
	.size	_ZN9rocsolver6v33100L11gemm_kernelI19rocblas_complex_numIfEiPKS3_PS3_PKS6_S6_EEvT0_S9_S9_T1_bT2_lS9_S9_lbT3_lS9_S9_lSA_T4_lS9_S9_l, .Lfunc_end27-_ZN9rocsolver6v33100L11gemm_kernelI19rocblas_complex_numIfEiPKS3_PS3_PKS6_S6_EEvT0_S9_S9_T1_bT2_lS9_S9_lbT3_lS9_S9_lSA_T4_lS9_S9_l
                                        ; -- End function
	.set _ZN9rocsolver6v33100L11gemm_kernelI19rocblas_complex_numIfEiPKS3_PS3_PKS6_S6_EEvT0_S9_S9_T1_bT2_lS9_S9_lbT3_lS9_S9_lSA_T4_lS9_S9_l.num_vgpr, 17
	.set _ZN9rocsolver6v33100L11gemm_kernelI19rocblas_complex_numIfEiPKS3_PS3_PKS6_S6_EEvT0_S9_S9_T1_bT2_lS9_S9_lbT3_lS9_S9_lSA_T4_lS9_S9_l.num_agpr, 0
	.set _ZN9rocsolver6v33100L11gemm_kernelI19rocblas_complex_numIfEiPKS3_PS3_PKS6_S6_EEvT0_S9_S9_T1_bT2_lS9_S9_lbT3_lS9_S9_lSA_T4_lS9_S9_l.numbered_sgpr, 31
	.set _ZN9rocsolver6v33100L11gemm_kernelI19rocblas_complex_numIfEiPKS3_PS3_PKS6_S6_EEvT0_S9_S9_T1_bT2_lS9_S9_lbT3_lS9_S9_lSA_T4_lS9_S9_l.num_named_barrier, 0
	.set _ZN9rocsolver6v33100L11gemm_kernelI19rocblas_complex_numIfEiPKS3_PS3_PKS6_S6_EEvT0_S9_S9_T1_bT2_lS9_S9_lbT3_lS9_S9_lSA_T4_lS9_S9_l.private_seg_size, 0
	.set _ZN9rocsolver6v33100L11gemm_kernelI19rocblas_complex_numIfEiPKS3_PS3_PKS6_S6_EEvT0_S9_S9_T1_bT2_lS9_S9_lbT3_lS9_S9_lSA_T4_lS9_S9_l.uses_vcc, 1
	.set _ZN9rocsolver6v33100L11gemm_kernelI19rocblas_complex_numIfEiPKS3_PS3_PKS6_S6_EEvT0_S9_S9_T1_bT2_lS9_S9_lbT3_lS9_S9_lSA_T4_lS9_S9_l.uses_flat_scratch, 0
	.set _ZN9rocsolver6v33100L11gemm_kernelI19rocblas_complex_numIfEiPKS3_PS3_PKS6_S6_EEvT0_S9_S9_T1_bT2_lS9_S9_lbT3_lS9_S9_lSA_T4_lS9_S9_l.has_dyn_sized_stack, 0
	.set _ZN9rocsolver6v33100L11gemm_kernelI19rocblas_complex_numIfEiPKS3_PS3_PKS6_S6_EEvT0_S9_S9_T1_bT2_lS9_S9_lbT3_lS9_S9_lSA_T4_lS9_S9_l.has_recursion, 0
	.set _ZN9rocsolver6v33100L11gemm_kernelI19rocblas_complex_numIfEiPKS3_PS3_PKS6_S6_EEvT0_S9_S9_T1_bT2_lS9_S9_lbT3_lS9_S9_lSA_T4_lS9_S9_l.has_indirect_call, 0
	.section	.AMDGPU.csdata,"",@progbits
; Kernel info:
; codeLenInByte = 784
; TotalNumSgprs: 33
; NumVgprs: 17
; ScratchSize: 0
; MemoryBound: 0
; FloatMode: 240
; IeeeMode: 1
; LDSByteSize: 0 bytes/workgroup (compile time only)
; SGPRBlocks: 0
; VGPRBlocks: 1
; NumSGPRsForWavesPerEU: 33
; NumVGPRsForWavesPerEU: 17
; NamedBarCnt: 0
; Occupancy: 16
; WaveLimiterHint : 1
; COMPUTE_PGM_RSRC2:SCRATCH_EN: 0
; COMPUTE_PGM_RSRC2:USER_SGPR: 2
; COMPUTE_PGM_RSRC2:TRAP_HANDLER: 0
; COMPUTE_PGM_RSRC2:TGID_X_EN: 1
; COMPUTE_PGM_RSRC2:TGID_Y_EN: 1
; COMPUTE_PGM_RSRC2:TGID_Z_EN: 1
; COMPUTE_PGM_RSRC2:TIDIG_COMP_CNT: 1
	.section	.text._ZN9rocsolver6v33100L11gemm_kernelI19rocblas_complex_numIfEiS3_PS3_PKS4_S4_EEvT0_S7_S7_T1_bT2_lS7_S7_lbT3_lS7_S7_lS8_T4_lS7_S7_l,"axG",@progbits,_ZN9rocsolver6v33100L11gemm_kernelI19rocblas_complex_numIfEiS3_PS3_PKS4_S4_EEvT0_S7_S7_T1_bT2_lS7_S7_lbT3_lS7_S7_lS8_T4_lS7_S7_l,comdat
	.globl	_ZN9rocsolver6v33100L11gemm_kernelI19rocblas_complex_numIfEiS3_PS3_PKS4_S4_EEvT0_S7_S7_T1_bT2_lS7_S7_lbT3_lS7_S7_lS8_T4_lS7_S7_l ; -- Begin function _ZN9rocsolver6v33100L11gemm_kernelI19rocblas_complex_numIfEiS3_PS3_PKS4_S4_EEvT0_S7_S7_T1_bT2_lS7_S7_lbT3_lS7_S7_lS8_T4_lS7_S7_l
	.p2align	8
	.type	_ZN9rocsolver6v33100L11gemm_kernelI19rocblas_complex_numIfEiS3_PS3_PKS4_S4_EEvT0_S7_S7_T1_bT2_lS7_S7_lbT3_lS7_S7_lS8_T4_lS7_S7_l,@function
_ZN9rocsolver6v33100L11gemm_kernelI19rocblas_complex_numIfEiS3_PS3_PKS4_S4_EEvT0_S7_S7_T1_bT2_lS7_S7_lbT3_lS7_S7_lS8_T4_lS7_S7_l: ; @_ZN9rocsolver6v33100L11gemm_kernelI19rocblas_complex_numIfEiS3_PS3_PKS4_S4_EEvT0_S7_S7_T1_bT2_lS7_S7_lbT3_lS7_S7_lS8_T4_lS7_S7_l
; %bb.0:
	s_clause 0x1
	s_load_b32 s2, s[0:1], 0x94
	s_load_b128 s[12:15], s[0:1], 0x0
	s_bfe_u32 s5, ttmp6, 0x4000c
	s_bfe_u32 s7, ttmp6, 0x40010
	s_and_b32 s6, ttmp7, 0xffff
	s_add_co_i32 s5, s5, 1
	s_add_co_i32 s7, s7, 1
	s_and_b32 s3, ttmp6, 15
	s_bfe_u32 s8, ttmp6, 0x40004
	s_mul_i32 s5, ttmp9, s5
	s_mul_i32 s7, s6, s7
	s_getreg_b32 s4, hwreg(HW_REG_IB_STS2, 6, 4)
	v_bfe_u32 v2, v0, 10, 10
	v_and_b32_e32 v0, 0x3ff, v0
	s_add_co_i32 s3, s3, s5
	s_add_co_i32 s8, s8, s7
	s_mov_b32 s17, 0
	s_wait_kmcnt 0x0
	s_and_b32 s5, s2, 0xffff
	s_lshr_b32 s2, s2, 16
	s_cmp_eq_u32 s4, 0
	s_cselect_b32 s3, ttmp9, s3
	s_cselect_b32 s6, s6, s8
	v_mad_u32 v1, s3, s5, v0
	v_mad_u32 v3, s6, s2, v2
	s_delay_alu instid0(VALU_DEP_2) | instskip(NEXT) | instid1(VALU_DEP_2)
	v_cmp_gt_i32_e32 vcc_lo, s12, v1
	v_cmp_gt_i32_e64 s2, s13, v3
	s_and_b32 s2, vcc_lo, s2
	s_delay_alu instid0(SALU_CYCLE_1)
	s_and_saveexec_b32 s3, s2
	s_cbranch_execz .LBB28_10
; %bb.1:
	s_clause 0x1
	s_load_b64 s[2:3], s[0:1], 0x10
	s_load_b64 s[12:13], s[0:1], 0x60
	s_bfe_u32 s5, ttmp6, 0x40014
	s_lshr_b32 s6, ttmp7, 16
	s_add_co_i32 s5, s5, 1
	s_bfe_u32 s7, ttmp6, 0x40008
	s_mul_i32 s5, s6, s5
	s_delay_alu instid0(SALU_CYCLE_1)
	s_add_co_i32 s7, s7, s5
	s_cmp_eq_u32 s4, 0
	s_cselect_b32 s16, s6, s7
	s_cmp_lt_i32 s14, 1
	s_cbranch_scc1 .LBB28_8
; %bb.2:
	s_clause 0x3
	s_load_b128 s[20:23], s[0:1], 0x40
	s_load_b32 s26, s[0:1], 0x38
	s_load_b256 s[4:11], s[0:1], 0x18
	s_load_b64 s[18:19], s[0:1], 0x50
	s_wait_kmcnt 0x0
	s_bitcmp1_b32 s3, 0
	v_dual_mov_b32 v0, 0 :: v_dual_mov_b32 v2, 0
	s_cselect_b32 s3, -1, 0
	s_delay_alu instid0(SALU_CYCLE_1)
	s_xor_b32 s3, s3, -1
	s_load_b64 s[24:25], s[20:21], s16 offset:0x0 scale_offset
	s_bitcmp1_b32 s26, 0
	v_mul_lo_u32 v4, v1, s8
	v_mul_lo_u32 v10, v3, s19
	s_mul_u64 s[10:11], s[10:11], s[16:17]
	s_wait_xcnt 0x0
	s_cselect_b32 s20, -1, 0
	s_lshl_b64 s[10:11], s[10:11], 3
	s_lshl_b64 s[6:7], s[6:7], 3
	s_add_nc_u64 s[4:5], s[4:5], s[10:11]
	s_lshl_b64 s[10:11], s[22:23], 3
	s_add_nc_u64 s[4:5], s[4:5], s[6:7]
	s_wait_kmcnt 0x0
	s_add_nc_u64 s[6:7], s[24:25], s[10:11]
	s_branch .LBB28_4
.LBB28_3:                               ;   in Loop: Header=BB28_4 Depth=1
	flat_load_b64 v[8:9], v10, s[6:7] scale_offset
	s_add_co_i32 s14, s14, -1
	v_add_nc_u32_e32 v4, s9, v4
	s_cmp_eq_u32 s14, 0
	s_wait_loadcnt_dscnt 0x0
	v_dual_cndmask_b32 v5, v9, -v9, s20 :: v_dual_mul_f32 v9, v7, v8
	s_delay_alu instid0(VALU_DEP_1) | instskip(SKIP_1) | instid1(VALU_DEP_2)
	v_dual_mul_f32 v7, v7, v5 :: v_dual_fmac_f32 v9, v5, v6
	v_add_nc_u32_e32 v10, s18, v10
	v_fma_f32 v5, v8, v6, -v7
	s_delay_alu instid0(VALU_DEP_3) | instskip(NEXT) | instid1(VALU_DEP_2)
	v_add_f32_e32 v0, v0, v9
	v_add_f32_e32 v2, v2, v5
	s_cbranch_scc1 .LBB28_9
.LBB28_4:                               ; =>This Inner Loop Header: Depth=1
	v_ashrrev_i32_e32 v5, 31, v4
	s_and_b32 vcc_lo, exec_lo, s3
	s_mov_b32 s8, -1
                                        ; implicit-def: $vgpr7
	s_delay_alu instid0(VALU_DEP_1)
	v_lshl_add_u64 v[8:9], v[4:5], 3, s[4:5]
	s_cbranch_vccz .LBB28_6
; %bb.5:                                ;   in Loop: Header=BB28_4 Depth=1
	global_load_b64 v[6:7], v[8:9], off
	s_mov_b32 s8, 0
.LBB28_6:                               ;   in Loop: Header=BB28_4 Depth=1
	s_delay_alu instid0(SALU_CYCLE_1)
	s_and_not1_b32 vcc_lo, exec_lo, s8
	s_cbranch_vccnz .LBB28_3
; %bb.7:                                ;   in Loop: Header=BB28_4 Depth=1
	s_wait_loadcnt 0x0
	global_load_b64 v[6:7], v[8:9], off
	s_wait_loadcnt 0x0
	v_xor_b32_e32 v7, 0x80000000, v7
	s_branch .LBB28_3
.LBB28_8:
	v_dual_mov_b32 v0, 0 :: v_dual_mov_b32 v2, 0
.LBB28_9:
	s_load_b256 s[4:11], s[0:1], 0x68
	s_wait_kmcnt 0x0
	v_dual_mov_b32 v6, s2 :: v_dual_mov_b32 v7, s15
	v_mov_b64_e32 v[8:9], s[12:13]
	v_mul_lo_u32 v1, v1, s8
	s_mul_u64 s[0:1], s[10:11], s[16:17]
	s_delay_alu instid0(SALU_CYCLE_1) | instskip(NEXT) | instid1(SALU_CYCLE_1)
	s_lshl_b64 s[0:1], s[0:1], 3
	s_add_nc_u64 s[0:1], s[4:5], s[0:1]
	s_lshl_b64 s[4:5], s[6:7], 3
	s_delay_alu instid0(SALU_CYCLE_1) | instskip(SKIP_2) | instid1(VALU_DEP_1)
	s_add_nc_u64 s[0:1], s[0:1], s[4:5]
	s_mov_b32 s4, s15
	s_mov_b32 s5, s2
	v_mad_u32 v16, v3, s9, v1
	v_pk_mul_f32 v[0:1], v[6:7], v[0:1] op_sel_hi:[1,0]
	v_mov_b64_e32 v[6:7], s[4:5]
	s_delay_alu instid0(VALU_DEP_1) | instskip(SKIP_4) | instid1(VALU_DEP_1)
	v_pk_fma_f32 v[12:13], v[6:7], v[2:3], v[0:1] op_sel_hi:[1,0,1]
	v_pk_fma_f32 v[0:1], v[6:7], v[2:3], v[0:1] neg_lo:[0,0,1] neg_hi:[0,0,1]
	global_load_b64 v[4:5], v16, s[0:1] scale_offset
	s_wait_loadcnt 0x0
	v_pk_mul_f32 v[10:11], v[8:9], v[4:5] op_sel:[1,1] op_sel_hi:[0,1]
	v_pk_fma_f32 v[14:15], v[8:9], v[4:5], v[10:11] op_sel_hi:[1,0,1]
	v_pk_fma_f32 v[2:3], v[8:9], v[4:5], v[10:11] neg_lo:[0,0,1] neg_hi:[0,0,1]
	s_delay_alu instid0(VALU_DEP_2) | instskip(NEXT) | instid1(VALU_DEP_1)
	v_dual_mov_b32 v1, v13 :: v_dual_mov_b32 v3, v15
	v_pk_add_f32 v[0:1], v[0:1], v[2:3]
	global_store_b64 v16, v[0:1], s[0:1] scale_offset
.LBB28_10:
	s_endpgm
	.section	.rodata,"a",@progbits
	.p2align	6, 0x0
	.amdhsa_kernel _ZN9rocsolver6v33100L11gemm_kernelI19rocblas_complex_numIfEiS3_PS3_PKS4_S4_EEvT0_S7_S7_T1_bT2_lS7_S7_lbT3_lS7_S7_lS8_T4_lS7_S7_l
		.amdhsa_group_segment_fixed_size 0
		.amdhsa_private_segment_fixed_size 0
		.amdhsa_kernarg_size 392
		.amdhsa_user_sgpr_count 2
		.amdhsa_user_sgpr_dispatch_ptr 0
		.amdhsa_user_sgpr_queue_ptr 0
		.amdhsa_user_sgpr_kernarg_segment_ptr 1
		.amdhsa_user_sgpr_dispatch_id 0
		.amdhsa_user_sgpr_kernarg_preload_length 0
		.amdhsa_user_sgpr_kernarg_preload_offset 0
		.amdhsa_user_sgpr_private_segment_size 0
		.amdhsa_wavefront_size32 1
		.amdhsa_uses_dynamic_stack 0
		.amdhsa_enable_private_segment 0
		.amdhsa_system_sgpr_workgroup_id_x 1
		.amdhsa_system_sgpr_workgroup_id_y 1
		.amdhsa_system_sgpr_workgroup_id_z 1
		.amdhsa_system_sgpr_workgroup_info 0
		.amdhsa_system_vgpr_workitem_id 1
		.amdhsa_next_free_vgpr 17
		.amdhsa_next_free_sgpr 27
		.amdhsa_named_barrier_count 0
		.amdhsa_reserve_vcc 1
		.amdhsa_float_round_mode_32 0
		.amdhsa_float_round_mode_16_64 0
		.amdhsa_float_denorm_mode_32 3
		.amdhsa_float_denorm_mode_16_64 3
		.amdhsa_fp16_overflow 0
		.amdhsa_memory_ordered 1
		.amdhsa_forward_progress 1
		.amdhsa_inst_pref_size 6
		.amdhsa_round_robin_scheduling 0
		.amdhsa_exception_fp_ieee_invalid_op 0
		.amdhsa_exception_fp_denorm_src 0
		.amdhsa_exception_fp_ieee_div_zero 0
		.amdhsa_exception_fp_ieee_overflow 0
		.amdhsa_exception_fp_ieee_underflow 0
		.amdhsa_exception_fp_ieee_inexact 0
		.amdhsa_exception_int_div_zero 0
	.end_amdhsa_kernel
	.section	.text._ZN9rocsolver6v33100L11gemm_kernelI19rocblas_complex_numIfEiS3_PS3_PKS4_S4_EEvT0_S7_S7_T1_bT2_lS7_S7_lbT3_lS7_S7_lS8_T4_lS7_S7_l,"axG",@progbits,_ZN9rocsolver6v33100L11gemm_kernelI19rocblas_complex_numIfEiS3_PS3_PKS4_S4_EEvT0_S7_S7_T1_bT2_lS7_S7_lbT3_lS7_S7_lS8_T4_lS7_S7_l,comdat
.Lfunc_end28:
	.size	_ZN9rocsolver6v33100L11gemm_kernelI19rocblas_complex_numIfEiS3_PS3_PKS4_S4_EEvT0_S7_S7_T1_bT2_lS7_S7_lbT3_lS7_S7_lS8_T4_lS7_S7_l, .Lfunc_end28-_ZN9rocsolver6v33100L11gemm_kernelI19rocblas_complex_numIfEiS3_PS3_PKS4_S4_EEvT0_S7_S7_T1_bT2_lS7_S7_lbT3_lS7_S7_lS8_T4_lS7_S7_l
                                        ; -- End function
	.set _ZN9rocsolver6v33100L11gemm_kernelI19rocblas_complex_numIfEiS3_PS3_PKS4_S4_EEvT0_S7_S7_T1_bT2_lS7_S7_lbT3_lS7_S7_lS8_T4_lS7_S7_l.num_vgpr, 17
	.set _ZN9rocsolver6v33100L11gemm_kernelI19rocblas_complex_numIfEiS3_PS3_PKS4_S4_EEvT0_S7_S7_T1_bT2_lS7_S7_lbT3_lS7_S7_lS8_T4_lS7_S7_l.num_agpr, 0
	.set _ZN9rocsolver6v33100L11gemm_kernelI19rocblas_complex_numIfEiS3_PS3_PKS4_S4_EEvT0_S7_S7_T1_bT2_lS7_S7_lbT3_lS7_S7_lS8_T4_lS7_S7_l.numbered_sgpr, 27
	.set _ZN9rocsolver6v33100L11gemm_kernelI19rocblas_complex_numIfEiS3_PS3_PKS4_S4_EEvT0_S7_S7_T1_bT2_lS7_S7_lbT3_lS7_S7_lS8_T4_lS7_S7_l.num_named_barrier, 0
	.set _ZN9rocsolver6v33100L11gemm_kernelI19rocblas_complex_numIfEiS3_PS3_PKS4_S4_EEvT0_S7_S7_T1_bT2_lS7_S7_lbT3_lS7_S7_lS8_T4_lS7_S7_l.private_seg_size, 0
	.set _ZN9rocsolver6v33100L11gemm_kernelI19rocblas_complex_numIfEiS3_PS3_PKS4_S4_EEvT0_S7_S7_T1_bT2_lS7_S7_lbT3_lS7_S7_lS8_T4_lS7_S7_l.uses_vcc, 1
	.set _ZN9rocsolver6v33100L11gemm_kernelI19rocblas_complex_numIfEiS3_PS3_PKS4_S4_EEvT0_S7_S7_T1_bT2_lS7_S7_lbT3_lS7_S7_lS8_T4_lS7_S7_l.uses_flat_scratch, 0
	.set _ZN9rocsolver6v33100L11gemm_kernelI19rocblas_complex_numIfEiS3_PS3_PKS4_S4_EEvT0_S7_S7_T1_bT2_lS7_S7_lbT3_lS7_S7_lS8_T4_lS7_S7_l.has_dyn_sized_stack, 0
	.set _ZN9rocsolver6v33100L11gemm_kernelI19rocblas_complex_numIfEiS3_PS3_PKS4_S4_EEvT0_S7_S7_T1_bT2_lS7_S7_lbT3_lS7_S7_lS8_T4_lS7_S7_l.has_recursion, 0
	.set _ZN9rocsolver6v33100L11gemm_kernelI19rocblas_complex_numIfEiS3_PS3_PKS4_S4_EEvT0_S7_S7_T1_bT2_lS7_S7_lbT3_lS7_S7_lS8_T4_lS7_S7_l.has_indirect_call, 0
	.section	.AMDGPU.csdata,"",@progbits
; Kernel info:
; codeLenInByte = 764
; TotalNumSgprs: 29
; NumVgprs: 17
; ScratchSize: 0
; MemoryBound: 0
; FloatMode: 240
; IeeeMode: 1
; LDSByteSize: 0 bytes/workgroup (compile time only)
; SGPRBlocks: 0
; VGPRBlocks: 1
; NumSGPRsForWavesPerEU: 29
; NumVGPRsForWavesPerEU: 17
; NamedBarCnt: 0
; Occupancy: 16
; WaveLimiterHint : 1
; COMPUTE_PGM_RSRC2:SCRATCH_EN: 0
; COMPUTE_PGM_RSRC2:USER_SGPR: 2
; COMPUTE_PGM_RSRC2:TRAP_HANDLER: 0
; COMPUTE_PGM_RSRC2:TGID_X_EN: 1
; COMPUTE_PGM_RSRC2:TGID_Y_EN: 1
; COMPUTE_PGM_RSRC2:TGID_Z_EN: 1
; COMPUTE_PGM_RSRC2:TIDIG_COMP_CNT: 1
	.section	.text._ZN9rocsolver6v33100L16mfma_gemm_kernelI19rocblas_complex_numIfEiPKS3_PS3_S6_PKS6_EEv18rocblas_operation_S9_T0_SA_SA_T1_T2_lSA_SA_lT3_lSA_SA_lSB_T4_lSA_SA_l,"axG",@progbits,_ZN9rocsolver6v33100L16mfma_gemm_kernelI19rocblas_complex_numIfEiPKS3_PS3_S6_PKS6_EEv18rocblas_operation_S9_T0_SA_SA_T1_T2_lSA_SA_lT3_lSA_SA_lSB_T4_lSA_SA_l,comdat
	.globl	_ZN9rocsolver6v33100L16mfma_gemm_kernelI19rocblas_complex_numIfEiPKS3_PS3_S6_PKS6_EEv18rocblas_operation_S9_T0_SA_SA_T1_T2_lSA_SA_lT3_lSA_SA_lSB_T4_lSA_SA_l ; -- Begin function _ZN9rocsolver6v33100L16mfma_gemm_kernelI19rocblas_complex_numIfEiPKS3_PS3_S6_PKS6_EEv18rocblas_operation_S9_T0_SA_SA_T1_T2_lSA_SA_lT3_lSA_SA_lSB_T4_lSA_SA_l
	.p2align	8
	.type	_ZN9rocsolver6v33100L16mfma_gemm_kernelI19rocblas_complex_numIfEiPKS3_PS3_S6_PKS6_EEv18rocblas_operation_S9_T0_SA_SA_T1_T2_lSA_SA_lT3_lSA_SA_lSB_T4_lSA_SA_l,@function
_ZN9rocsolver6v33100L16mfma_gemm_kernelI19rocblas_complex_numIfEiPKS3_PS3_S6_PKS6_EEv18rocblas_operation_S9_T0_SA_SA_T1_T2_lSA_SA_lT3_lSA_SA_lSB_T4_lSA_SA_l: ; @_ZN9rocsolver6v33100L16mfma_gemm_kernelI19rocblas_complex_numIfEiPKS3_PS3_S6_PKS6_EEv18rocblas_operation_S9_T0_SA_SA_T1_T2_lSA_SA_lT3_lSA_SA_lSB_T4_lSA_SA_l
; %bb.0:
	s_endpgm
	.section	.rodata,"a",@progbits
	.p2align	6, 0x0
	.amdhsa_kernel _ZN9rocsolver6v33100L16mfma_gemm_kernelI19rocblas_complex_numIfEiPKS3_PS3_S6_PKS6_EEv18rocblas_operation_S9_T0_SA_SA_T1_T2_lSA_SA_lT3_lSA_SA_lSB_T4_lSA_SA_l
		.amdhsa_group_segment_fixed_size 0
		.amdhsa_private_segment_fixed_size 0
		.amdhsa_kernarg_size 136
		.amdhsa_user_sgpr_count 2
		.amdhsa_user_sgpr_dispatch_ptr 0
		.amdhsa_user_sgpr_queue_ptr 0
		.amdhsa_user_sgpr_kernarg_segment_ptr 1
		.amdhsa_user_sgpr_dispatch_id 0
		.amdhsa_user_sgpr_kernarg_preload_length 0
		.amdhsa_user_sgpr_kernarg_preload_offset 0
		.amdhsa_user_sgpr_private_segment_size 0
		.amdhsa_wavefront_size32 1
		.amdhsa_uses_dynamic_stack 0
		.amdhsa_enable_private_segment 0
		.amdhsa_system_sgpr_workgroup_id_x 1
		.amdhsa_system_sgpr_workgroup_id_y 0
		.amdhsa_system_sgpr_workgroup_id_z 0
		.amdhsa_system_sgpr_workgroup_info 0
		.amdhsa_system_vgpr_workitem_id 0
		.amdhsa_next_free_vgpr 1
		.amdhsa_next_free_sgpr 1
		.amdhsa_named_barrier_count 0
		.amdhsa_reserve_vcc 0
		.amdhsa_float_round_mode_32 0
		.amdhsa_float_round_mode_16_64 0
		.amdhsa_float_denorm_mode_32 3
		.amdhsa_float_denorm_mode_16_64 3
		.amdhsa_fp16_overflow 0
		.amdhsa_memory_ordered 1
		.amdhsa_forward_progress 1
		.amdhsa_inst_pref_size 1
		.amdhsa_round_robin_scheduling 0
		.amdhsa_exception_fp_ieee_invalid_op 0
		.amdhsa_exception_fp_denorm_src 0
		.amdhsa_exception_fp_ieee_div_zero 0
		.amdhsa_exception_fp_ieee_overflow 0
		.amdhsa_exception_fp_ieee_underflow 0
		.amdhsa_exception_fp_ieee_inexact 0
		.amdhsa_exception_int_div_zero 0
	.end_amdhsa_kernel
	.section	.text._ZN9rocsolver6v33100L16mfma_gemm_kernelI19rocblas_complex_numIfEiPKS3_PS3_S6_PKS6_EEv18rocblas_operation_S9_T0_SA_SA_T1_T2_lSA_SA_lT3_lSA_SA_lSB_T4_lSA_SA_l,"axG",@progbits,_ZN9rocsolver6v33100L16mfma_gemm_kernelI19rocblas_complex_numIfEiPKS3_PS3_S6_PKS6_EEv18rocblas_operation_S9_T0_SA_SA_T1_T2_lSA_SA_lT3_lSA_SA_lSB_T4_lSA_SA_l,comdat
.Lfunc_end29:
	.size	_ZN9rocsolver6v33100L16mfma_gemm_kernelI19rocblas_complex_numIfEiPKS3_PS3_S6_PKS6_EEv18rocblas_operation_S9_T0_SA_SA_T1_T2_lSA_SA_lT3_lSA_SA_lSB_T4_lSA_SA_l, .Lfunc_end29-_ZN9rocsolver6v33100L16mfma_gemm_kernelI19rocblas_complex_numIfEiPKS3_PS3_S6_PKS6_EEv18rocblas_operation_S9_T0_SA_SA_T1_T2_lSA_SA_lT3_lSA_SA_lSB_T4_lSA_SA_l
                                        ; -- End function
	.set _ZN9rocsolver6v33100L16mfma_gemm_kernelI19rocblas_complex_numIfEiPKS3_PS3_S6_PKS6_EEv18rocblas_operation_S9_T0_SA_SA_T1_T2_lSA_SA_lT3_lSA_SA_lSB_T4_lSA_SA_l.num_vgpr, 0
	.set _ZN9rocsolver6v33100L16mfma_gemm_kernelI19rocblas_complex_numIfEiPKS3_PS3_S6_PKS6_EEv18rocblas_operation_S9_T0_SA_SA_T1_T2_lSA_SA_lT3_lSA_SA_lSB_T4_lSA_SA_l.num_agpr, 0
	.set _ZN9rocsolver6v33100L16mfma_gemm_kernelI19rocblas_complex_numIfEiPKS3_PS3_S6_PKS6_EEv18rocblas_operation_S9_T0_SA_SA_T1_T2_lSA_SA_lT3_lSA_SA_lSB_T4_lSA_SA_l.numbered_sgpr, 0
	.set _ZN9rocsolver6v33100L16mfma_gemm_kernelI19rocblas_complex_numIfEiPKS3_PS3_S6_PKS6_EEv18rocblas_operation_S9_T0_SA_SA_T1_T2_lSA_SA_lT3_lSA_SA_lSB_T4_lSA_SA_l.num_named_barrier, 0
	.set _ZN9rocsolver6v33100L16mfma_gemm_kernelI19rocblas_complex_numIfEiPKS3_PS3_S6_PKS6_EEv18rocblas_operation_S9_T0_SA_SA_T1_T2_lSA_SA_lT3_lSA_SA_lSB_T4_lSA_SA_l.private_seg_size, 0
	.set _ZN9rocsolver6v33100L16mfma_gemm_kernelI19rocblas_complex_numIfEiPKS3_PS3_S6_PKS6_EEv18rocblas_operation_S9_T0_SA_SA_T1_T2_lSA_SA_lT3_lSA_SA_lSB_T4_lSA_SA_l.uses_vcc, 0
	.set _ZN9rocsolver6v33100L16mfma_gemm_kernelI19rocblas_complex_numIfEiPKS3_PS3_S6_PKS6_EEv18rocblas_operation_S9_T0_SA_SA_T1_T2_lSA_SA_lT3_lSA_SA_lSB_T4_lSA_SA_l.uses_flat_scratch, 0
	.set _ZN9rocsolver6v33100L16mfma_gemm_kernelI19rocblas_complex_numIfEiPKS3_PS3_S6_PKS6_EEv18rocblas_operation_S9_T0_SA_SA_T1_T2_lSA_SA_lT3_lSA_SA_lSB_T4_lSA_SA_l.has_dyn_sized_stack, 0
	.set _ZN9rocsolver6v33100L16mfma_gemm_kernelI19rocblas_complex_numIfEiPKS3_PS3_S6_PKS6_EEv18rocblas_operation_S9_T0_SA_SA_T1_T2_lSA_SA_lT3_lSA_SA_lSB_T4_lSA_SA_l.has_recursion, 0
	.set _ZN9rocsolver6v33100L16mfma_gemm_kernelI19rocblas_complex_numIfEiPKS3_PS3_S6_PKS6_EEv18rocblas_operation_S9_T0_SA_SA_T1_T2_lSA_SA_lT3_lSA_SA_lSB_T4_lSA_SA_l.has_indirect_call, 0
	.section	.AMDGPU.csdata,"",@progbits
; Kernel info:
; codeLenInByte = 4
; TotalNumSgprs: 0
; NumVgprs: 0
; ScratchSize: 0
; MemoryBound: 0
; FloatMode: 240
; IeeeMode: 1
; LDSByteSize: 0 bytes/workgroup (compile time only)
; SGPRBlocks: 0
; VGPRBlocks: 0
; NumSGPRsForWavesPerEU: 1
; NumVGPRsForWavesPerEU: 1
; NamedBarCnt: 0
; Occupancy: 16
; WaveLimiterHint : 0
; COMPUTE_PGM_RSRC2:SCRATCH_EN: 0
; COMPUTE_PGM_RSRC2:USER_SGPR: 2
; COMPUTE_PGM_RSRC2:TRAP_HANDLER: 0
; COMPUTE_PGM_RSRC2:TGID_X_EN: 1
; COMPUTE_PGM_RSRC2:TGID_Y_EN: 0
; COMPUTE_PGM_RSRC2:TGID_Z_EN: 0
; COMPUTE_PGM_RSRC2:TIDIG_COMP_CNT: 0
	.section	.text._ZN9rocsolver6v33100L16mfma_gemm_kernelI19rocblas_complex_numIfEiS3_PS3_S4_PKS4_EEv18rocblas_operation_S7_T0_S8_S8_T1_T2_lS8_S8_lT3_lS8_S8_lS9_T4_lS8_S8_l,"axG",@progbits,_ZN9rocsolver6v33100L16mfma_gemm_kernelI19rocblas_complex_numIfEiS3_PS3_S4_PKS4_EEv18rocblas_operation_S7_T0_S8_S8_T1_T2_lS8_S8_lT3_lS8_S8_lS9_T4_lS8_S8_l,comdat
	.globl	_ZN9rocsolver6v33100L16mfma_gemm_kernelI19rocblas_complex_numIfEiS3_PS3_S4_PKS4_EEv18rocblas_operation_S7_T0_S8_S8_T1_T2_lS8_S8_lT3_lS8_S8_lS9_T4_lS8_S8_l ; -- Begin function _ZN9rocsolver6v33100L16mfma_gemm_kernelI19rocblas_complex_numIfEiS3_PS3_S4_PKS4_EEv18rocblas_operation_S7_T0_S8_S8_T1_T2_lS8_S8_lT3_lS8_S8_lS9_T4_lS8_S8_l
	.p2align	8
	.type	_ZN9rocsolver6v33100L16mfma_gemm_kernelI19rocblas_complex_numIfEiS3_PS3_S4_PKS4_EEv18rocblas_operation_S7_T0_S8_S8_T1_T2_lS8_S8_lT3_lS8_S8_lS9_T4_lS8_S8_l,@function
_ZN9rocsolver6v33100L16mfma_gemm_kernelI19rocblas_complex_numIfEiS3_PS3_S4_PKS4_EEv18rocblas_operation_S7_T0_S8_S8_T1_T2_lS8_S8_lT3_lS8_S8_lS9_T4_lS8_S8_l: ; @_ZN9rocsolver6v33100L16mfma_gemm_kernelI19rocblas_complex_numIfEiS3_PS3_S4_PKS4_EEv18rocblas_operation_S7_T0_S8_S8_T1_T2_lS8_S8_lT3_lS8_S8_lS9_T4_lS8_S8_l
; %bb.0:
	s_endpgm
	.section	.rodata,"a",@progbits
	.p2align	6, 0x0
	.amdhsa_kernel _ZN9rocsolver6v33100L16mfma_gemm_kernelI19rocblas_complex_numIfEiS3_PS3_S4_PKS4_EEv18rocblas_operation_S7_T0_S8_S8_T1_T2_lS8_S8_lT3_lS8_S8_lS9_T4_lS8_S8_l
		.amdhsa_group_segment_fixed_size 0
		.amdhsa_private_segment_fixed_size 0
		.amdhsa_kernarg_size 136
		.amdhsa_user_sgpr_count 2
		.amdhsa_user_sgpr_dispatch_ptr 0
		.amdhsa_user_sgpr_queue_ptr 0
		.amdhsa_user_sgpr_kernarg_segment_ptr 1
		.amdhsa_user_sgpr_dispatch_id 0
		.amdhsa_user_sgpr_kernarg_preload_length 0
		.amdhsa_user_sgpr_kernarg_preload_offset 0
		.amdhsa_user_sgpr_private_segment_size 0
		.amdhsa_wavefront_size32 1
		.amdhsa_uses_dynamic_stack 0
		.amdhsa_enable_private_segment 0
		.amdhsa_system_sgpr_workgroup_id_x 1
		.amdhsa_system_sgpr_workgroup_id_y 0
		.amdhsa_system_sgpr_workgroup_id_z 0
		.amdhsa_system_sgpr_workgroup_info 0
		.amdhsa_system_vgpr_workitem_id 0
		.amdhsa_next_free_vgpr 1
		.amdhsa_next_free_sgpr 1
		.amdhsa_named_barrier_count 0
		.amdhsa_reserve_vcc 0
		.amdhsa_float_round_mode_32 0
		.amdhsa_float_round_mode_16_64 0
		.amdhsa_float_denorm_mode_32 3
		.amdhsa_float_denorm_mode_16_64 3
		.amdhsa_fp16_overflow 0
		.amdhsa_memory_ordered 1
		.amdhsa_forward_progress 1
		.amdhsa_inst_pref_size 1
		.amdhsa_round_robin_scheduling 0
		.amdhsa_exception_fp_ieee_invalid_op 0
		.amdhsa_exception_fp_denorm_src 0
		.amdhsa_exception_fp_ieee_div_zero 0
		.amdhsa_exception_fp_ieee_overflow 0
		.amdhsa_exception_fp_ieee_underflow 0
		.amdhsa_exception_fp_ieee_inexact 0
		.amdhsa_exception_int_div_zero 0
	.end_amdhsa_kernel
	.section	.text._ZN9rocsolver6v33100L16mfma_gemm_kernelI19rocblas_complex_numIfEiS3_PS3_S4_PKS4_EEv18rocblas_operation_S7_T0_S8_S8_T1_T2_lS8_S8_lT3_lS8_S8_lS9_T4_lS8_S8_l,"axG",@progbits,_ZN9rocsolver6v33100L16mfma_gemm_kernelI19rocblas_complex_numIfEiS3_PS3_S4_PKS4_EEv18rocblas_operation_S7_T0_S8_S8_T1_T2_lS8_S8_lT3_lS8_S8_lS9_T4_lS8_S8_l,comdat
.Lfunc_end30:
	.size	_ZN9rocsolver6v33100L16mfma_gemm_kernelI19rocblas_complex_numIfEiS3_PS3_S4_PKS4_EEv18rocblas_operation_S7_T0_S8_S8_T1_T2_lS8_S8_lT3_lS8_S8_lS9_T4_lS8_S8_l, .Lfunc_end30-_ZN9rocsolver6v33100L16mfma_gemm_kernelI19rocblas_complex_numIfEiS3_PS3_S4_PKS4_EEv18rocblas_operation_S7_T0_S8_S8_T1_T2_lS8_S8_lT3_lS8_S8_lS9_T4_lS8_S8_l
                                        ; -- End function
	.set _ZN9rocsolver6v33100L16mfma_gemm_kernelI19rocblas_complex_numIfEiS3_PS3_S4_PKS4_EEv18rocblas_operation_S7_T0_S8_S8_T1_T2_lS8_S8_lT3_lS8_S8_lS9_T4_lS8_S8_l.num_vgpr, 0
	.set _ZN9rocsolver6v33100L16mfma_gemm_kernelI19rocblas_complex_numIfEiS3_PS3_S4_PKS4_EEv18rocblas_operation_S7_T0_S8_S8_T1_T2_lS8_S8_lT3_lS8_S8_lS9_T4_lS8_S8_l.num_agpr, 0
	.set _ZN9rocsolver6v33100L16mfma_gemm_kernelI19rocblas_complex_numIfEiS3_PS3_S4_PKS4_EEv18rocblas_operation_S7_T0_S8_S8_T1_T2_lS8_S8_lT3_lS8_S8_lS9_T4_lS8_S8_l.numbered_sgpr, 0
	.set _ZN9rocsolver6v33100L16mfma_gemm_kernelI19rocblas_complex_numIfEiS3_PS3_S4_PKS4_EEv18rocblas_operation_S7_T0_S8_S8_T1_T2_lS8_S8_lT3_lS8_S8_lS9_T4_lS8_S8_l.num_named_barrier, 0
	.set _ZN9rocsolver6v33100L16mfma_gemm_kernelI19rocblas_complex_numIfEiS3_PS3_S4_PKS4_EEv18rocblas_operation_S7_T0_S8_S8_T1_T2_lS8_S8_lT3_lS8_S8_lS9_T4_lS8_S8_l.private_seg_size, 0
	.set _ZN9rocsolver6v33100L16mfma_gemm_kernelI19rocblas_complex_numIfEiS3_PS3_S4_PKS4_EEv18rocblas_operation_S7_T0_S8_S8_T1_T2_lS8_S8_lT3_lS8_S8_lS9_T4_lS8_S8_l.uses_vcc, 0
	.set _ZN9rocsolver6v33100L16mfma_gemm_kernelI19rocblas_complex_numIfEiS3_PS3_S4_PKS4_EEv18rocblas_operation_S7_T0_S8_S8_T1_T2_lS8_S8_lT3_lS8_S8_lS9_T4_lS8_S8_l.uses_flat_scratch, 0
	.set _ZN9rocsolver6v33100L16mfma_gemm_kernelI19rocblas_complex_numIfEiS3_PS3_S4_PKS4_EEv18rocblas_operation_S7_T0_S8_S8_T1_T2_lS8_S8_lT3_lS8_S8_lS9_T4_lS8_S8_l.has_dyn_sized_stack, 0
	.set _ZN9rocsolver6v33100L16mfma_gemm_kernelI19rocblas_complex_numIfEiS3_PS3_S4_PKS4_EEv18rocblas_operation_S7_T0_S8_S8_T1_T2_lS8_S8_lT3_lS8_S8_lS9_T4_lS8_S8_l.has_recursion, 0
	.set _ZN9rocsolver6v33100L16mfma_gemm_kernelI19rocblas_complex_numIfEiS3_PS3_S4_PKS4_EEv18rocblas_operation_S7_T0_S8_S8_T1_T2_lS8_S8_lT3_lS8_S8_lS9_T4_lS8_S8_l.has_indirect_call, 0
	.section	.AMDGPU.csdata,"",@progbits
; Kernel info:
; codeLenInByte = 4
; TotalNumSgprs: 0
; NumVgprs: 0
; ScratchSize: 0
; MemoryBound: 0
; FloatMode: 240
; IeeeMode: 1
; LDSByteSize: 0 bytes/workgroup (compile time only)
; SGPRBlocks: 0
; VGPRBlocks: 0
; NumSGPRsForWavesPerEU: 1
; NumVGPRsForWavesPerEU: 1
; NamedBarCnt: 0
; Occupancy: 16
; WaveLimiterHint : 0
; COMPUTE_PGM_RSRC2:SCRATCH_EN: 0
; COMPUTE_PGM_RSRC2:USER_SGPR: 2
; COMPUTE_PGM_RSRC2:TRAP_HANDLER: 0
; COMPUTE_PGM_RSRC2:TGID_X_EN: 1
; COMPUTE_PGM_RSRC2:TGID_Y_EN: 0
; COMPUTE_PGM_RSRC2:TGID_Z_EN: 0
; COMPUTE_PGM_RSRC2:TIDIG_COMP_CNT: 0
	.section	.text._ZN9rocsolver6v33100L11gemm_kernelI19rocblas_complex_numIfEiPKS3_PS3_S6_PKS6_EEvT0_S9_S9_T1_bT2_lS9_S9_lbT3_lS9_S9_lSA_T4_lS9_S9_l,"axG",@progbits,_ZN9rocsolver6v33100L11gemm_kernelI19rocblas_complex_numIfEiPKS3_PS3_S6_PKS6_EEvT0_S9_S9_T1_bT2_lS9_S9_lbT3_lS9_S9_lSA_T4_lS9_S9_l,comdat
	.globl	_ZN9rocsolver6v33100L11gemm_kernelI19rocblas_complex_numIfEiPKS3_PS3_S6_PKS6_EEvT0_S9_S9_T1_bT2_lS9_S9_lbT3_lS9_S9_lSA_T4_lS9_S9_l ; -- Begin function _ZN9rocsolver6v33100L11gemm_kernelI19rocblas_complex_numIfEiPKS3_PS3_S6_PKS6_EEvT0_S9_S9_T1_bT2_lS9_S9_lbT3_lS9_S9_lSA_T4_lS9_S9_l
	.p2align	8
	.type	_ZN9rocsolver6v33100L11gemm_kernelI19rocblas_complex_numIfEiPKS3_PS3_S6_PKS6_EEvT0_S9_S9_T1_bT2_lS9_S9_lbT3_lS9_S9_lSA_T4_lS9_S9_l,@function
_ZN9rocsolver6v33100L11gemm_kernelI19rocblas_complex_numIfEiPKS3_PS3_S6_PKS6_EEvT0_S9_S9_T1_bT2_lS9_S9_lbT3_lS9_S9_lSA_T4_lS9_S9_l: ; @_ZN9rocsolver6v33100L11gemm_kernelI19rocblas_complex_numIfEiPKS3_PS3_S6_PKS6_EEvT0_S9_S9_T1_bT2_lS9_S9_lbT3_lS9_S9_lSA_T4_lS9_S9_l
; %bb.0:
	s_clause 0x1
	s_load_b32 s2, s[0:1], 0x9c
	s_load_b96 s[20:22], s[0:1], 0x0
	s_bfe_u32 s4, ttmp6, 0x4000c
	s_bfe_u32 s6, ttmp6, 0x40010
	s_and_b32 s5, ttmp7, 0xffff
	s_add_co_i32 s4, s4, 1
	s_add_co_i32 s6, s6, 1
	s_and_b32 s3, ttmp6, 15
	s_bfe_u32 s7, ttmp6, 0x40004
	s_mul_i32 s4, ttmp9, s4
	s_mul_i32 s6, s5, s6
	s_getreg_b32 s12, hwreg(HW_REG_IB_STS2, 6, 4)
	v_bfe_u32 v2, v0, 10, 10
	v_and_b32_e32 v0, 0x3ff, v0
	s_add_co_i32 s3, s3, s4
	s_add_co_i32 s7, s7, s6
	s_mov_b32 s25, 0
	s_wait_kmcnt 0x0
	s_and_b32 s4, s2, 0xffff
	s_lshr_b32 s2, s2, 16
	s_cmp_eq_u32 s12, 0
	s_cselect_b32 s3, ttmp9, s3
	s_cselect_b32 s5, s5, s7
	v_mad_u32 v1, s3, s4, v0
	v_mad_u32 v3, s5, s2, v2
	s_delay_alu instid0(VALU_DEP_2) | instskip(NEXT) | instid1(VALU_DEP_2)
	v_cmp_gt_i32_e32 vcc_lo, s20, v1
	v_cmp_gt_i32_e64 s2, s21, v3
	s_and_b32 s2, vcc_lo, s2
	s_delay_alu instid0(SALU_CYCLE_1)
	s_and_saveexec_b32 s3, s2
	s_cbranch_execz .LBB31_10
; %bb.1:
	s_clause 0x1
	s_load_b64 s[14:15], s[0:1], 0x10
	s_load_b256 s[4:11], s[0:1], 0x60
	s_bfe_u32 s13, ttmp6, 0x40008
	s_wait_kmcnt 0x0
	s_load_b64 s[20:21], s[14:15], 0x0
	s_load_b64 s[2:3], s[6:7], 0x0
	s_wait_xcnt 0x0
	s_bfe_u32 s6, ttmp6, 0x40014
	s_lshr_b32 s7, ttmp7, 16
	s_add_co_i32 s6, s6, 1
	s_delay_alu instid0(SALU_CYCLE_1) | instskip(NEXT) | instid1(SALU_CYCLE_1)
	s_mul_i32 s6, s7, s6
	s_add_co_i32 s13, s13, s6
	s_cmp_eq_u32 s12, 0
	s_cselect_b32 s24, s7, s13
	s_cmp_lt_i32 s22, 1
	s_cbranch_scc1 .LBB31_8
; %bb.2:
	s_clause 0x4
	s_load_b32 s23, s[0:1], 0x18
	s_load_b256 s[12:19], s[0:1], 0x20
	s_load_b32 s26, s[0:1], 0x40
	s_load_b64 s[6:7], s[0:1], 0x58
	s_load_b128 s[28:31], s[0:1], 0x48
	s_mul_u64 s[4:5], s[4:5], s[24:25]
	v_dual_mov_b32 v0, 0 :: v_dual_mov_b32 v2, 0
	s_wait_kmcnt 0x0
	s_bitcmp1_b32 s23, 0
	v_mul_lo_u32 v4, v1, s16
	s_cselect_b32 s23, -1, 0
	v_mul_lo_u32 v10, v3, s7
	s_xor_b32 s16, s23, -1
	s_mul_u64 s[18:19], s[18:19], s[24:25]
	s_bitcmp1_b32 s26, 0
	s_cselect_b32 s7, -1, 0
	s_lshl_b64 s[18:19], s[18:19], 3
	s_lshl_b64 s[4:5], s[4:5], 3
	;; [unrolled: 1-line block ×4, first 2 shown]
	s_add_nc_u64 s[12:13], s[12:13], s[18:19]
	s_add_nc_u64 s[18:19], s[28:29], s[4:5]
	;; [unrolled: 1-line block ×4, first 2 shown]
	s_branch .LBB31_4
.LBB31_3:                               ;   in Loop: Header=BB31_4 Depth=1
	global_load_b64 v[8:9], v10, s[12:13] scale_offset
	s_add_co_i32 s22, s22, -1
	v_add_nc_u32_e32 v4, s17, v4
	s_cmp_eq_u32 s22, 0
	s_wait_loadcnt 0x0
	v_dual_cndmask_b32 v5, v9, -v9, s7 :: v_dual_mul_f32 v9, v7, v8
	s_delay_alu instid0(VALU_DEP_1) | instskip(SKIP_1) | instid1(VALU_DEP_2)
	v_dual_mul_f32 v7, v7, v5 :: v_dual_fmac_f32 v9, v5, v6
	v_add_nc_u32_e32 v10, s6, v10
	v_fma_f32 v5, v8, v6, -v7
	s_delay_alu instid0(VALU_DEP_3) | instskip(NEXT) | instid1(VALU_DEP_2)
	v_add_f32_e32 v0, v0, v9
	v_add_f32_e32 v2, v2, v5
	s_cbranch_scc1 .LBB31_9
.LBB31_4:                               ; =>This Inner Loop Header: Depth=1
	v_ashrrev_i32_e32 v5, 31, v4
	s_and_b32 vcc_lo, exec_lo, s16
	s_mov_b32 s14, -1
                                        ; implicit-def: $vgpr7
	s_delay_alu instid0(VALU_DEP_1)
	v_lshl_add_u64 v[8:9], v[4:5], 3, s[4:5]
	s_cbranch_vccz .LBB31_6
; %bb.5:                                ;   in Loop: Header=BB31_4 Depth=1
	global_load_b64 v[6:7], v[8:9], off
	s_mov_b32 s14, 0
.LBB31_6:                               ;   in Loop: Header=BB31_4 Depth=1
	s_delay_alu instid0(SALU_CYCLE_1)
	s_and_not1_b32 vcc_lo, exec_lo, s14
	s_cbranch_vccnz .LBB31_3
; %bb.7:                                ;   in Loop: Header=BB31_4 Depth=1
	s_wait_loadcnt 0x0
	global_load_b64 v[6:7], v[8:9], off
	s_wait_loadcnt 0x0
	v_xor_b32_e32 v7, 0x80000000, v7
	s_branch .LBB31_3
.LBB31_8:
	v_dual_mov_b32 v0, 0 :: v_dual_mov_b32 v2, 0
.LBB31_9:
	s_load_b64 s[4:5], s[8:9], s24 offset:0x0 scale_offset
	s_nop 0
	s_load_b64 s[0:1], s[0:1], 0x80
	s_wait_kmcnt 0x0
	v_mov_b64_e32 v[6:7], s[20:21]
	v_mov_b64_e32 v[8:9], s[2:3]
	v_mul_lo_u32 v1, v1, s0
	s_delay_alu instid0(VALU_DEP_1) | instskip(SKIP_1) | instid1(VALU_DEP_4)
	v_mad_u32 v16, v3, s1, v1
	s_lshl_b64 s[0:1], s[10:11], 3
	v_pk_mul_f32 v[0:1], v[6:7], v[0:1] op_sel:[1,0] op_sel_hi:[0,0]
	s_add_nc_u64 s[0:1], s[4:5], s[0:1]
	s_delay_alu instid0(VALU_DEP_1) | instskip(SKIP_4) | instid1(VALU_DEP_1)
	v_pk_fma_f32 v[12:13], v[6:7], v[2:3], v[0:1] op_sel_hi:[1,0,1]
	v_pk_fma_f32 v[0:1], v[6:7], v[2:3], v[0:1] neg_lo:[0,0,1] neg_hi:[0,0,1]
	flat_load_b64 v[4:5], v16, s[0:1] scale_offset
	s_wait_loadcnt_dscnt 0x0
	v_pk_mul_f32 v[10:11], v[8:9], v[4:5] op_sel:[1,1] op_sel_hi:[0,1]
	v_pk_fma_f32 v[14:15], v[8:9], v[4:5], v[10:11] op_sel_hi:[1,0,1]
	v_pk_fma_f32 v[2:3], v[8:9], v[4:5], v[10:11] neg_lo:[0,0,1] neg_hi:[0,0,1]
	s_delay_alu instid0(VALU_DEP_2) | instskip(NEXT) | instid1(VALU_DEP_1)
	v_dual_mov_b32 v1, v13 :: v_dual_mov_b32 v3, v15
	v_pk_add_f32 v[0:1], v[0:1], v[2:3]
	flat_store_b64 v16, v[0:1], s[0:1] scale_offset
.LBB31_10:
	s_endpgm
	.section	.rodata,"a",@progbits
	.p2align	6, 0x0
	.amdhsa_kernel _ZN9rocsolver6v33100L11gemm_kernelI19rocblas_complex_numIfEiPKS3_PS3_S6_PKS6_EEvT0_S9_S9_T1_bT2_lS9_S9_lbT3_lS9_S9_lSA_T4_lS9_S9_l
		.amdhsa_group_segment_fixed_size 0
		.amdhsa_private_segment_fixed_size 0
		.amdhsa_kernarg_size 400
		.amdhsa_user_sgpr_count 2
		.amdhsa_user_sgpr_dispatch_ptr 0
		.amdhsa_user_sgpr_queue_ptr 0
		.amdhsa_user_sgpr_kernarg_segment_ptr 1
		.amdhsa_user_sgpr_dispatch_id 0
		.amdhsa_user_sgpr_kernarg_preload_length 0
		.amdhsa_user_sgpr_kernarg_preload_offset 0
		.amdhsa_user_sgpr_private_segment_size 0
		.amdhsa_wavefront_size32 1
		.amdhsa_uses_dynamic_stack 0
		.amdhsa_enable_private_segment 0
		.amdhsa_system_sgpr_workgroup_id_x 1
		.amdhsa_system_sgpr_workgroup_id_y 1
		.amdhsa_system_sgpr_workgroup_id_z 1
		.amdhsa_system_sgpr_workgroup_info 0
		.amdhsa_system_vgpr_workitem_id 1
		.amdhsa_next_free_vgpr 17
		.amdhsa_next_free_sgpr 32
		.amdhsa_named_barrier_count 0
		.amdhsa_reserve_vcc 1
		.amdhsa_float_round_mode_32 0
		.amdhsa_float_round_mode_16_64 0
		.amdhsa_float_denorm_mode_32 3
		.amdhsa_float_denorm_mode_16_64 3
		.amdhsa_fp16_overflow 0
		.amdhsa_memory_ordered 1
		.amdhsa_forward_progress 1
		.amdhsa_inst_pref_size 6
		.amdhsa_round_robin_scheduling 0
		.amdhsa_exception_fp_ieee_invalid_op 0
		.amdhsa_exception_fp_denorm_src 0
		.amdhsa_exception_fp_ieee_div_zero 0
		.amdhsa_exception_fp_ieee_overflow 0
		.amdhsa_exception_fp_ieee_underflow 0
		.amdhsa_exception_fp_ieee_inexact 0
		.amdhsa_exception_int_div_zero 0
	.end_amdhsa_kernel
	.section	.text._ZN9rocsolver6v33100L11gemm_kernelI19rocblas_complex_numIfEiPKS3_PS3_S6_PKS6_EEvT0_S9_S9_T1_bT2_lS9_S9_lbT3_lS9_S9_lSA_T4_lS9_S9_l,"axG",@progbits,_ZN9rocsolver6v33100L11gemm_kernelI19rocblas_complex_numIfEiPKS3_PS3_S6_PKS6_EEvT0_S9_S9_T1_bT2_lS9_S9_lbT3_lS9_S9_lSA_T4_lS9_S9_l,comdat
.Lfunc_end31:
	.size	_ZN9rocsolver6v33100L11gemm_kernelI19rocblas_complex_numIfEiPKS3_PS3_S6_PKS6_EEvT0_S9_S9_T1_bT2_lS9_S9_lbT3_lS9_S9_lSA_T4_lS9_S9_l, .Lfunc_end31-_ZN9rocsolver6v33100L11gemm_kernelI19rocblas_complex_numIfEiPKS3_PS3_S6_PKS6_EEvT0_S9_S9_T1_bT2_lS9_S9_lbT3_lS9_S9_lSA_T4_lS9_S9_l
                                        ; -- End function
	.set _ZN9rocsolver6v33100L11gemm_kernelI19rocblas_complex_numIfEiPKS3_PS3_S6_PKS6_EEvT0_S9_S9_T1_bT2_lS9_S9_lbT3_lS9_S9_lSA_T4_lS9_S9_l.num_vgpr, 17
	.set _ZN9rocsolver6v33100L11gemm_kernelI19rocblas_complex_numIfEiPKS3_PS3_S6_PKS6_EEvT0_S9_S9_T1_bT2_lS9_S9_lbT3_lS9_S9_lSA_T4_lS9_S9_l.num_agpr, 0
	.set _ZN9rocsolver6v33100L11gemm_kernelI19rocblas_complex_numIfEiPKS3_PS3_S6_PKS6_EEvT0_S9_S9_T1_bT2_lS9_S9_lbT3_lS9_S9_lSA_T4_lS9_S9_l.numbered_sgpr, 32
	.set _ZN9rocsolver6v33100L11gemm_kernelI19rocblas_complex_numIfEiPKS3_PS3_S6_PKS6_EEvT0_S9_S9_T1_bT2_lS9_S9_lbT3_lS9_S9_lSA_T4_lS9_S9_l.num_named_barrier, 0
	.set _ZN9rocsolver6v33100L11gemm_kernelI19rocblas_complex_numIfEiPKS3_PS3_S6_PKS6_EEvT0_S9_S9_T1_bT2_lS9_S9_lbT3_lS9_S9_lSA_T4_lS9_S9_l.private_seg_size, 0
	.set _ZN9rocsolver6v33100L11gemm_kernelI19rocblas_complex_numIfEiPKS3_PS3_S6_PKS6_EEvT0_S9_S9_T1_bT2_lS9_S9_lbT3_lS9_S9_lSA_T4_lS9_S9_l.uses_vcc, 1
	.set _ZN9rocsolver6v33100L11gemm_kernelI19rocblas_complex_numIfEiPKS3_PS3_S6_PKS6_EEvT0_S9_S9_T1_bT2_lS9_S9_lbT3_lS9_S9_lSA_T4_lS9_S9_l.uses_flat_scratch, 0
	.set _ZN9rocsolver6v33100L11gemm_kernelI19rocblas_complex_numIfEiPKS3_PS3_S6_PKS6_EEvT0_S9_S9_T1_bT2_lS9_S9_lbT3_lS9_S9_lSA_T4_lS9_S9_l.has_dyn_sized_stack, 0
	.set _ZN9rocsolver6v33100L11gemm_kernelI19rocblas_complex_numIfEiPKS3_PS3_S6_PKS6_EEvT0_S9_S9_T1_bT2_lS9_S9_lbT3_lS9_S9_lSA_T4_lS9_S9_l.has_recursion, 0
	.set _ZN9rocsolver6v33100L11gemm_kernelI19rocblas_complex_numIfEiPKS3_PS3_S6_PKS6_EEvT0_S9_S9_T1_bT2_lS9_S9_lbT3_lS9_S9_lSA_T4_lS9_S9_l.has_indirect_call, 0
	.section	.AMDGPU.csdata,"",@progbits
; Kernel info:
; codeLenInByte = 768
; TotalNumSgprs: 34
; NumVgprs: 17
; ScratchSize: 0
; MemoryBound: 0
; FloatMode: 240
; IeeeMode: 1
; LDSByteSize: 0 bytes/workgroup (compile time only)
; SGPRBlocks: 0
; VGPRBlocks: 1
; NumSGPRsForWavesPerEU: 34
; NumVGPRsForWavesPerEU: 17
; NamedBarCnt: 0
; Occupancy: 16
; WaveLimiterHint : 1
; COMPUTE_PGM_RSRC2:SCRATCH_EN: 0
; COMPUTE_PGM_RSRC2:USER_SGPR: 2
; COMPUTE_PGM_RSRC2:TRAP_HANDLER: 0
; COMPUTE_PGM_RSRC2:TGID_X_EN: 1
; COMPUTE_PGM_RSRC2:TGID_Y_EN: 1
; COMPUTE_PGM_RSRC2:TGID_Z_EN: 1
; COMPUTE_PGM_RSRC2:TIDIG_COMP_CNT: 1
	.section	.text._ZN9rocsolver6v33100L11gemm_kernelI19rocblas_complex_numIfEiS3_PS3_S4_PKS4_EEvT0_S7_S7_T1_bT2_lS7_S7_lbT3_lS7_S7_lS8_T4_lS7_S7_l,"axG",@progbits,_ZN9rocsolver6v33100L11gemm_kernelI19rocblas_complex_numIfEiS3_PS3_S4_PKS4_EEvT0_S7_S7_T1_bT2_lS7_S7_lbT3_lS7_S7_lS8_T4_lS7_S7_l,comdat
	.globl	_ZN9rocsolver6v33100L11gemm_kernelI19rocblas_complex_numIfEiS3_PS3_S4_PKS4_EEvT0_S7_S7_T1_bT2_lS7_S7_lbT3_lS7_S7_lS8_T4_lS7_S7_l ; -- Begin function _ZN9rocsolver6v33100L11gemm_kernelI19rocblas_complex_numIfEiS3_PS3_S4_PKS4_EEvT0_S7_S7_T1_bT2_lS7_S7_lbT3_lS7_S7_lS8_T4_lS7_S7_l
	.p2align	8
	.type	_ZN9rocsolver6v33100L11gemm_kernelI19rocblas_complex_numIfEiS3_PS3_S4_PKS4_EEvT0_S7_S7_T1_bT2_lS7_S7_lbT3_lS7_S7_lS8_T4_lS7_S7_l,@function
_ZN9rocsolver6v33100L11gemm_kernelI19rocblas_complex_numIfEiS3_PS3_S4_PKS4_EEvT0_S7_S7_T1_bT2_lS7_S7_lbT3_lS7_S7_lS8_T4_lS7_S7_l: ; @_ZN9rocsolver6v33100L11gemm_kernelI19rocblas_complex_numIfEiS3_PS3_S4_PKS4_EEvT0_S7_S7_T1_bT2_lS7_S7_lbT3_lS7_S7_lS8_T4_lS7_S7_l
; %bb.0:
	s_clause 0x1
	s_load_b32 s2, s[0:1], 0x94
	s_load_b128 s[20:23], s[0:1], 0x0
	s_bfe_u32 s5, ttmp6, 0x4000c
	s_bfe_u32 s7, ttmp6, 0x40010
	s_and_b32 s6, ttmp7, 0xffff
	s_add_co_i32 s5, s5, 1
	s_add_co_i32 s7, s7, 1
	s_and_b32 s3, ttmp6, 15
	s_bfe_u32 s8, ttmp6, 0x40004
	s_mul_i32 s5, ttmp9, s5
	s_mul_i32 s7, s6, s7
	s_getreg_b32 s4, hwreg(HW_REG_IB_STS2, 6, 4)
	v_bfe_u32 v2, v0, 10, 10
	v_and_b32_e32 v0, 0x3ff, v0
	s_add_co_i32 s3, s3, s5
	s_add_co_i32 s8, s8, s7
	s_mov_b32 s29, 0
	s_wait_kmcnt 0x0
	s_and_b32 s5, s2, 0xffff
	s_lshr_b32 s2, s2, 16
	s_cmp_eq_u32 s4, 0
	s_cselect_b32 s3, ttmp9, s3
	s_cselect_b32 s6, s6, s8
	v_mad_u32 v1, s3, s5, v0
	v_mad_u32 v3, s6, s2, v2
	s_delay_alu instid0(VALU_DEP_2) | instskip(NEXT) | instid1(VALU_DEP_2)
	v_cmp_gt_i32_e32 vcc_lo, s20, v1
	v_cmp_gt_i32_e64 s2, s21, v3
	s_and_b32 s2, vcc_lo, s2
	s_delay_alu instid0(SALU_CYCLE_1)
	s_and_saveexec_b32 s3, s2
	s_cbranch_execz .LBB32_10
; %bb.1:
	s_clause 0x2
	s_load_b64 s[2:3], s[0:1], 0x10
	s_load_b64 s[20:21], s[0:1], 0x60
	s_load_b128 s[24:27], s[0:1], 0x68
	s_bfe_u32 s5, ttmp6, 0x40014
	s_lshr_b32 s6, ttmp7, 16
	s_add_co_i32 s5, s5, 1
	s_bfe_u32 s7, ttmp6, 0x40008
	s_mul_i32 s5, s6, s5
	s_delay_alu instid0(SALU_CYCLE_1)
	s_add_co_i32 s7, s7, s5
	s_cmp_eq_u32 s4, 0
	s_cselect_b32 s28, s6, s7
	s_cmp_lt_i32 s22, 1
	s_cbranch_scc1 .LBB32_8
; %bb.2:
	s_clause 0x2
	s_load_b32 s30, s[0:1], 0x38
	s_load_b256 s[4:11], s[0:1], 0x18
	s_load_b256 s[12:19], s[0:1], 0x40
	s_wait_kmcnt 0x0
	s_bitcmp1_b32 s3, 0
	v_dual_mov_b32 v0, 0 :: v_dual_mov_b32 v2, 0
	s_cselect_b32 s3, -1, 0
	s_delay_alu instid0(SALU_CYCLE_1)
	s_xor_b32 s3, s3, -1
	s_bitcmp1_b32 s30, 0
	v_mul_lo_u32 v4, v1, s8
	v_mul_lo_u32 v10, v3, s17
	s_mul_u64 s[10:11], s[10:11], s[28:29]
	s_mul_u64 s[18:19], s[18:19], s[28:29]
	s_cselect_b32 s8, -1, 0
	s_lshl_b64 s[10:11], s[10:11], 3
	s_lshl_b64 s[18:19], s[18:19], 3
	;; [unrolled: 1-line block ×3, first 2 shown]
	s_add_nc_u64 s[4:5], s[4:5], s[10:11]
	s_add_nc_u64 s[10:11], s[12:13], s[18:19]
	s_lshl_b64 s[12:13], s[14:15], 3
	s_add_nc_u64 s[4:5], s[4:5], s[6:7]
	s_add_nc_u64 s[6:7], s[10:11], s[12:13]
	s_branch .LBB32_4
.LBB32_3:                               ;   in Loop: Header=BB32_4 Depth=1
	global_load_b64 v[8:9], v10, s[6:7] scale_offset
	s_add_co_i32 s22, s22, -1
	v_add_nc_u32_e32 v4, s9, v4
	s_cmp_eq_u32 s22, 0
	s_wait_loadcnt 0x0
	v_dual_cndmask_b32 v5, v9, -v9, s8 :: v_dual_mul_f32 v9, v7, v8
	s_delay_alu instid0(VALU_DEP_1) | instskip(SKIP_1) | instid1(VALU_DEP_2)
	v_dual_mul_f32 v7, v7, v5 :: v_dual_fmac_f32 v9, v5, v6
	v_add_nc_u32_e32 v10, s16, v10
	v_fma_f32 v5, v8, v6, -v7
	s_delay_alu instid0(VALU_DEP_3) | instskip(NEXT) | instid1(VALU_DEP_2)
	v_add_f32_e32 v0, v0, v9
	v_add_f32_e32 v2, v2, v5
	s_cbranch_scc1 .LBB32_9
.LBB32_4:                               ; =>This Inner Loop Header: Depth=1
	v_ashrrev_i32_e32 v5, 31, v4
	s_and_b32 vcc_lo, exec_lo, s3
	s_mov_b32 s10, -1
                                        ; implicit-def: $vgpr7
	s_delay_alu instid0(VALU_DEP_1)
	v_lshl_add_u64 v[8:9], v[4:5], 3, s[4:5]
	s_cbranch_vccz .LBB32_6
; %bb.5:                                ;   in Loop: Header=BB32_4 Depth=1
	global_load_b64 v[6:7], v[8:9], off
	s_mov_b32 s10, 0
.LBB32_6:                               ;   in Loop: Header=BB32_4 Depth=1
	s_delay_alu instid0(SALU_CYCLE_1)
	s_and_not1_b32 vcc_lo, exec_lo, s10
	s_cbranch_vccnz .LBB32_3
; %bb.7:                                ;   in Loop: Header=BB32_4 Depth=1
	s_wait_loadcnt 0x0
	global_load_b64 v[6:7], v[8:9], off
	s_wait_loadcnt 0x0
	v_xor_b32_e32 v7, 0x80000000, v7
	s_branch .LBB32_3
.LBB32_8:
	v_dual_mov_b32 v0, 0 :: v_dual_mov_b32 v2, 0
.LBB32_9:
	s_wait_kmcnt 0x0
	s_load_b64 s[4:5], s[24:25], s28 offset:0x0 scale_offset
	s_nop 0
	s_load_b64 s[0:1], s[0:1], 0x78
	v_dual_mov_b32 v6, s2 :: v_dual_mov_b32 v7, s23
	v_mov_b64_e32 v[8:9], s[20:21]
	s_wait_kmcnt 0x0
	v_mul_lo_u32 v1, v1, s0
	s_delay_alu instid0(VALU_DEP_1)
	v_mad_u32 v16, v3, s1, v1
	s_lshl_b64 s[0:1], s[26:27], 3
	v_pk_mul_f32 v[0:1], v[6:7], v[0:1] op_sel_hi:[1,0]
	s_add_nc_u64 s[0:1], s[4:5], s[0:1]
	s_mov_b32 s4, s23
	s_mov_b32 s5, s2
	s_delay_alu instid0(SALU_CYCLE_1)
	v_mov_b64_e32 v[6:7], s[4:5]
	flat_load_b64 v[4:5], v16, s[0:1] scale_offset
	v_pk_fma_f32 v[12:13], v[6:7], v[2:3], v[0:1] op_sel_hi:[1,0,1]
	v_pk_fma_f32 v[0:1], v[6:7], v[2:3], v[0:1] neg_lo:[0,0,1] neg_hi:[0,0,1]
	s_wait_loadcnt_dscnt 0x0
	v_pk_mul_f32 v[10:11], v[8:9], v[4:5] op_sel:[1,1] op_sel_hi:[0,1]
	s_delay_alu instid0(VALU_DEP_1) | instskip(SKIP_1) | instid1(VALU_DEP_2)
	v_pk_fma_f32 v[14:15], v[8:9], v[4:5], v[10:11] op_sel_hi:[1,0,1]
	v_pk_fma_f32 v[2:3], v[8:9], v[4:5], v[10:11] neg_lo:[0,0,1] neg_hi:[0,0,1]
	v_dual_mov_b32 v1, v13 :: v_dual_mov_b32 v3, v15
	s_delay_alu instid0(VALU_DEP_1)
	v_pk_add_f32 v[0:1], v[0:1], v[2:3]
	flat_store_b64 v16, v[0:1], s[0:1] scale_offset
.LBB32_10:
	s_endpgm
	.section	.rodata,"a",@progbits
	.p2align	6, 0x0
	.amdhsa_kernel _ZN9rocsolver6v33100L11gemm_kernelI19rocblas_complex_numIfEiS3_PS3_S4_PKS4_EEvT0_S7_S7_T1_bT2_lS7_S7_lbT3_lS7_S7_lS8_T4_lS7_S7_l
		.amdhsa_group_segment_fixed_size 0
		.amdhsa_private_segment_fixed_size 0
		.amdhsa_kernarg_size 392
		.amdhsa_user_sgpr_count 2
		.amdhsa_user_sgpr_dispatch_ptr 0
		.amdhsa_user_sgpr_queue_ptr 0
		.amdhsa_user_sgpr_kernarg_segment_ptr 1
		.amdhsa_user_sgpr_dispatch_id 0
		.amdhsa_user_sgpr_kernarg_preload_length 0
		.amdhsa_user_sgpr_kernarg_preload_offset 0
		.amdhsa_user_sgpr_private_segment_size 0
		.amdhsa_wavefront_size32 1
		.amdhsa_uses_dynamic_stack 0
		.amdhsa_enable_private_segment 0
		.amdhsa_system_sgpr_workgroup_id_x 1
		.amdhsa_system_sgpr_workgroup_id_y 1
		.amdhsa_system_sgpr_workgroup_id_z 1
		.amdhsa_system_sgpr_workgroup_info 0
		.amdhsa_system_vgpr_workitem_id 1
		.amdhsa_next_free_vgpr 17
		.amdhsa_next_free_sgpr 31
		.amdhsa_named_barrier_count 0
		.amdhsa_reserve_vcc 1
		.amdhsa_float_round_mode_32 0
		.amdhsa_float_round_mode_16_64 0
		.amdhsa_float_denorm_mode_32 3
		.amdhsa_float_denorm_mode_16_64 3
		.amdhsa_fp16_overflow 0
		.amdhsa_memory_ordered 1
		.amdhsa_forward_progress 1
		.amdhsa_inst_pref_size 6
		.amdhsa_round_robin_scheduling 0
		.amdhsa_exception_fp_ieee_invalid_op 0
		.amdhsa_exception_fp_denorm_src 0
		.amdhsa_exception_fp_ieee_div_zero 0
		.amdhsa_exception_fp_ieee_overflow 0
		.amdhsa_exception_fp_ieee_underflow 0
		.amdhsa_exception_fp_ieee_inexact 0
		.amdhsa_exception_int_div_zero 0
	.end_amdhsa_kernel
	.section	.text._ZN9rocsolver6v33100L11gemm_kernelI19rocblas_complex_numIfEiS3_PS3_S4_PKS4_EEvT0_S7_S7_T1_bT2_lS7_S7_lbT3_lS7_S7_lS8_T4_lS7_S7_l,"axG",@progbits,_ZN9rocsolver6v33100L11gemm_kernelI19rocblas_complex_numIfEiS3_PS3_S4_PKS4_EEvT0_S7_S7_T1_bT2_lS7_S7_lbT3_lS7_S7_lS8_T4_lS7_S7_l,comdat
.Lfunc_end32:
	.size	_ZN9rocsolver6v33100L11gemm_kernelI19rocblas_complex_numIfEiS3_PS3_S4_PKS4_EEvT0_S7_S7_T1_bT2_lS7_S7_lbT3_lS7_S7_lS8_T4_lS7_S7_l, .Lfunc_end32-_ZN9rocsolver6v33100L11gemm_kernelI19rocblas_complex_numIfEiS3_PS3_S4_PKS4_EEvT0_S7_S7_T1_bT2_lS7_S7_lbT3_lS7_S7_lS8_T4_lS7_S7_l
                                        ; -- End function
	.set _ZN9rocsolver6v33100L11gemm_kernelI19rocblas_complex_numIfEiS3_PS3_S4_PKS4_EEvT0_S7_S7_T1_bT2_lS7_S7_lbT3_lS7_S7_lS8_T4_lS7_S7_l.num_vgpr, 17
	.set _ZN9rocsolver6v33100L11gemm_kernelI19rocblas_complex_numIfEiS3_PS3_S4_PKS4_EEvT0_S7_S7_T1_bT2_lS7_S7_lbT3_lS7_S7_lS8_T4_lS7_S7_l.num_agpr, 0
	.set _ZN9rocsolver6v33100L11gemm_kernelI19rocblas_complex_numIfEiS3_PS3_S4_PKS4_EEvT0_S7_S7_T1_bT2_lS7_S7_lbT3_lS7_S7_lS8_T4_lS7_S7_l.numbered_sgpr, 31
	.set _ZN9rocsolver6v33100L11gemm_kernelI19rocblas_complex_numIfEiS3_PS3_S4_PKS4_EEvT0_S7_S7_T1_bT2_lS7_S7_lbT3_lS7_S7_lS8_T4_lS7_S7_l.num_named_barrier, 0
	.set _ZN9rocsolver6v33100L11gemm_kernelI19rocblas_complex_numIfEiS3_PS3_S4_PKS4_EEvT0_S7_S7_T1_bT2_lS7_S7_lbT3_lS7_S7_lS8_T4_lS7_S7_l.private_seg_size, 0
	.set _ZN9rocsolver6v33100L11gemm_kernelI19rocblas_complex_numIfEiS3_PS3_S4_PKS4_EEvT0_S7_S7_T1_bT2_lS7_S7_lbT3_lS7_S7_lS8_T4_lS7_S7_l.uses_vcc, 1
	.set _ZN9rocsolver6v33100L11gemm_kernelI19rocblas_complex_numIfEiS3_PS3_S4_PKS4_EEvT0_S7_S7_T1_bT2_lS7_S7_lbT3_lS7_S7_lS8_T4_lS7_S7_l.uses_flat_scratch, 0
	.set _ZN9rocsolver6v33100L11gemm_kernelI19rocblas_complex_numIfEiS3_PS3_S4_PKS4_EEvT0_S7_S7_T1_bT2_lS7_S7_lbT3_lS7_S7_lS8_T4_lS7_S7_l.has_dyn_sized_stack, 0
	.set _ZN9rocsolver6v33100L11gemm_kernelI19rocblas_complex_numIfEiS3_PS3_S4_PKS4_EEvT0_S7_S7_T1_bT2_lS7_S7_lbT3_lS7_S7_lS8_T4_lS7_S7_l.has_recursion, 0
	.set _ZN9rocsolver6v33100L11gemm_kernelI19rocblas_complex_numIfEiS3_PS3_S4_PKS4_EEvT0_S7_S7_T1_bT2_lS7_S7_lbT3_lS7_S7_lS8_T4_lS7_S7_l.has_indirect_call, 0
	.section	.AMDGPU.csdata,"",@progbits
; Kernel info:
; codeLenInByte = 764
; TotalNumSgprs: 33
; NumVgprs: 17
; ScratchSize: 0
; MemoryBound: 0
; FloatMode: 240
; IeeeMode: 1
; LDSByteSize: 0 bytes/workgroup (compile time only)
; SGPRBlocks: 0
; VGPRBlocks: 1
; NumSGPRsForWavesPerEU: 33
; NumVGPRsForWavesPerEU: 17
; NamedBarCnt: 0
; Occupancy: 16
; WaveLimiterHint : 1
; COMPUTE_PGM_RSRC2:SCRATCH_EN: 0
; COMPUTE_PGM_RSRC2:USER_SGPR: 2
; COMPUTE_PGM_RSRC2:TRAP_HANDLER: 0
; COMPUTE_PGM_RSRC2:TGID_X_EN: 1
; COMPUTE_PGM_RSRC2:TGID_Y_EN: 1
; COMPUTE_PGM_RSRC2:TGID_Z_EN: 1
; COMPUTE_PGM_RSRC2:TIDIG_COMP_CNT: 1
	.section	.text._ZN9rocsolver6v33100L16mfma_gemm_kernelI19rocblas_complex_numIfElPKS3_PS3_S6_S6_EEv18rocblas_operation_S7_T0_S8_S8_T1_T2_lS8_S8_lT3_lS8_S8_lS9_T4_lS8_S8_l,"axG",@progbits,_ZN9rocsolver6v33100L16mfma_gemm_kernelI19rocblas_complex_numIfElPKS3_PS3_S6_S6_EEv18rocblas_operation_S7_T0_S8_S8_T1_T2_lS8_S8_lT3_lS8_S8_lS9_T4_lS8_S8_l,comdat
	.globl	_ZN9rocsolver6v33100L16mfma_gemm_kernelI19rocblas_complex_numIfElPKS3_PS3_S6_S6_EEv18rocblas_operation_S7_T0_S8_S8_T1_T2_lS8_S8_lT3_lS8_S8_lS9_T4_lS8_S8_l ; -- Begin function _ZN9rocsolver6v33100L16mfma_gemm_kernelI19rocblas_complex_numIfElPKS3_PS3_S6_S6_EEv18rocblas_operation_S7_T0_S8_S8_T1_T2_lS8_S8_lT3_lS8_S8_lS9_T4_lS8_S8_l
	.p2align	8
	.type	_ZN9rocsolver6v33100L16mfma_gemm_kernelI19rocblas_complex_numIfElPKS3_PS3_S6_S6_EEv18rocblas_operation_S7_T0_S8_S8_T1_T2_lS8_S8_lT3_lS8_S8_lS9_T4_lS8_S8_l,@function
_ZN9rocsolver6v33100L16mfma_gemm_kernelI19rocblas_complex_numIfElPKS3_PS3_S6_S6_EEv18rocblas_operation_S7_T0_S8_S8_T1_T2_lS8_S8_lT3_lS8_S8_lS9_T4_lS8_S8_l: ; @_ZN9rocsolver6v33100L16mfma_gemm_kernelI19rocblas_complex_numIfElPKS3_PS3_S6_S6_EEv18rocblas_operation_S7_T0_S8_S8_T1_T2_lS8_S8_lT3_lS8_S8_lS9_T4_lS8_S8_l
; %bb.0:
	s_endpgm
	.section	.rodata,"a",@progbits
	.p2align	6, 0x0
	.amdhsa_kernel _ZN9rocsolver6v33100L16mfma_gemm_kernelI19rocblas_complex_numIfElPKS3_PS3_S6_S6_EEv18rocblas_operation_S7_T0_S8_S8_T1_T2_lS8_S8_lT3_lS8_S8_lS9_T4_lS8_S8_l
		.amdhsa_group_segment_fixed_size 0
		.amdhsa_private_segment_fixed_size 0
		.amdhsa_kernarg_size 168
		.amdhsa_user_sgpr_count 2
		.amdhsa_user_sgpr_dispatch_ptr 0
		.amdhsa_user_sgpr_queue_ptr 0
		.amdhsa_user_sgpr_kernarg_segment_ptr 1
		.amdhsa_user_sgpr_dispatch_id 0
		.amdhsa_user_sgpr_kernarg_preload_length 0
		.amdhsa_user_sgpr_kernarg_preload_offset 0
		.amdhsa_user_sgpr_private_segment_size 0
		.amdhsa_wavefront_size32 1
		.amdhsa_uses_dynamic_stack 0
		.amdhsa_enable_private_segment 0
		.amdhsa_system_sgpr_workgroup_id_x 1
		.amdhsa_system_sgpr_workgroup_id_y 0
		.amdhsa_system_sgpr_workgroup_id_z 0
		.amdhsa_system_sgpr_workgroup_info 0
		.amdhsa_system_vgpr_workitem_id 0
		.amdhsa_next_free_vgpr 1
		.amdhsa_next_free_sgpr 1
		.amdhsa_named_barrier_count 0
		.amdhsa_reserve_vcc 0
		.amdhsa_float_round_mode_32 0
		.amdhsa_float_round_mode_16_64 0
		.amdhsa_float_denorm_mode_32 3
		.amdhsa_float_denorm_mode_16_64 3
		.amdhsa_fp16_overflow 0
		.amdhsa_memory_ordered 1
		.amdhsa_forward_progress 1
		.amdhsa_inst_pref_size 1
		.amdhsa_round_robin_scheduling 0
		.amdhsa_exception_fp_ieee_invalid_op 0
		.amdhsa_exception_fp_denorm_src 0
		.amdhsa_exception_fp_ieee_div_zero 0
		.amdhsa_exception_fp_ieee_overflow 0
		.amdhsa_exception_fp_ieee_underflow 0
		.amdhsa_exception_fp_ieee_inexact 0
		.amdhsa_exception_int_div_zero 0
	.end_amdhsa_kernel
	.section	.text._ZN9rocsolver6v33100L16mfma_gemm_kernelI19rocblas_complex_numIfElPKS3_PS3_S6_S6_EEv18rocblas_operation_S7_T0_S8_S8_T1_T2_lS8_S8_lT3_lS8_S8_lS9_T4_lS8_S8_l,"axG",@progbits,_ZN9rocsolver6v33100L16mfma_gemm_kernelI19rocblas_complex_numIfElPKS3_PS3_S6_S6_EEv18rocblas_operation_S7_T0_S8_S8_T1_T2_lS8_S8_lT3_lS8_S8_lS9_T4_lS8_S8_l,comdat
.Lfunc_end33:
	.size	_ZN9rocsolver6v33100L16mfma_gemm_kernelI19rocblas_complex_numIfElPKS3_PS3_S6_S6_EEv18rocblas_operation_S7_T0_S8_S8_T1_T2_lS8_S8_lT3_lS8_S8_lS9_T4_lS8_S8_l, .Lfunc_end33-_ZN9rocsolver6v33100L16mfma_gemm_kernelI19rocblas_complex_numIfElPKS3_PS3_S6_S6_EEv18rocblas_operation_S7_T0_S8_S8_T1_T2_lS8_S8_lT3_lS8_S8_lS9_T4_lS8_S8_l
                                        ; -- End function
	.set _ZN9rocsolver6v33100L16mfma_gemm_kernelI19rocblas_complex_numIfElPKS3_PS3_S6_S6_EEv18rocblas_operation_S7_T0_S8_S8_T1_T2_lS8_S8_lT3_lS8_S8_lS9_T4_lS8_S8_l.num_vgpr, 0
	.set _ZN9rocsolver6v33100L16mfma_gemm_kernelI19rocblas_complex_numIfElPKS3_PS3_S6_S6_EEv18rocblas_operation_S7_T0_S8_S8_T1_T2_lS8_S8_lT3_lS8_S8_lS9_T4_lS8_S8_l.num_agpr, 0
	.set _ZN9rocsolver6v33100L16mfma_gemm_kernelI19rocblas_complex_numIfElPKS3_PS3_S6_S6_EEv18rocblas_operation_S7_T0_S8_S8_T1_T2_lS8_S8_lT3_lS8_S8_lS9_T4_lS8_S8_l.numbered_sgpr, 0
	.set _ZN9rocsolver6v33100L16mfma_gemm_kernelI19rocblas_complex_numIfElPKS3_PS3_S6_S6_EEv18rocblas_operation_S7_T0_S8_S8_T1_T2_lS8_S8_lT3_lS8_S8_lS9_T4_lS8_S8_l.num_named_barrier, 0
	.set _ZN9rocsolver6v33100L16mfma_gemm_kernelI19rocblas_complex_numIfElPKS3_PS3_S6_S6_EEv18rocblas_operation_S7_T0_S8_S8_T1_T2_lS8_S8_lT3_lS8_S8_lS9_T4_lS8_S8_l.private_seg_size, 0
	.set _ZN9rocsolver6v33100L16mfma_gemm_kernelI19rocblas_complex_numIfElPKS3_PS3_S6_S6_EEv18rocblas_operation_S7_T0_S8_S8_T1_T2_lS8_S8_lT3_lS8_S8_lS9_T4_lS8_S8_l.uses_vcc, 0
	.set _ZN9rocsolver6v33100L16mfma_gemm_kernelI19rocblas_complex_numIfElPKS3_PS3_S6_S6_EEv18rocblas_operation_S7_T0_S8_S8_T1_T2_lS8_S8_lT3_lS8_S8_lS9_T4_lS8_S8_l.uses_flat_scratch, 0
	.set _ZN9rocsolver6v33100L16mfma_gemm_kernelI19rocblas_complex_numIfElPKS3_PS3_S6_S6_EEv18rocblas_operation_S7_T0_S8_S8_T1_T2_lS8_S8_lT3_lS8_S8_lS9_T4_lS8_S8_l.has_dyn_sized_stack, 0
	.set _ZN9rocsolver6v33100L16mfma_gemm_kernelI19rocblas_complex_numIfElPKS3_PS3_S6_S6_EEv18rocblas_operation_S7_T0_S8_S8_T1_T2_lS8_S8_lT3_lS8_S8_lS9_T4_lS8_S8_l.has_recursion, 0
	.set _ZN9rocsolver6v33100L16mfma_gemm_kernelI19rocblas_complex_numIfElPKS3_PS3_S6_S6_EEv18rocblas_operation_S7_T0_S8_S8_T1_T2_lS8_S8_lT3_lS8_S8_lS9_T4_lS8_S8_l.has_indirect_call, 0
	.section	.AMDGPU.csdata,"",@progbits
; Kernel info:
; codeLenInByte = 4
; TotalNumSgprs: 0
; NumVgprs: 0
; ScratchSize: 0
; MemoryBound: 0
; FloatMode: 240
; IeeeMode: 1
; LDSByteSize: 0 bytes/workgroup (compile time only)
; SGPRBlocks: 0
; VGPRBlocks: 0
; NumSGPRsForWavesPerEU: 1
; NumVGPRsForWavesPerEU: 1
; NamedBarCnt: 0
; Occupancy: 16
; WaveLimiterHint : 0
; COMPUTE_PGM_RSRC2:SCRATCH_EN: 0
; COMPUTE_PGM_RSRC2:USER_SGPR: 2
; COMPUTE_PGM_RSRC2:TRAP_HANDLER: 0
; COMPUTE_PGM_RSRC2:TGID_X_EN: 1
; COMPUTE_PGM_RSRC2:TGID_Y_EN: 0
; COMPUTE_PGM_RSRC2:TGID_Z_EN: 0
; COMPUTE_PGM_RSRC2:TIDIG_COMP_CNT: 0
	.section	.text._ZN9rocsolver6v33100L16mfma_gemm_kernelI19rocblas_complex_numIfElS3_PS3_S4_S4_EEv18rocblas_operation_S5_T0_S6_S6_T1_T2_lS6_S6_lT3_lS6_S6_lS7_T4_lS6_S6_l,"axG",@progbits,_ZN9rocsolver6v33100L16mfma_gemm_kernelI19rocblas_complex_numIfElS3_PS3_S4_S4_EEv18rocblas_operation_S5_T0_S6_S6_T1_T2_lS6_S6_lT3_lS6_S6_lS7_T4_lS6_S6_l,comdat
	.globl	_ZN9rocsolver6v33100L16mfma_gemm_kernelI19rocblas_complex_numIfElS3_PS3_S4_S4_EEv18rocblas_operation_S5_T0_S6_S6_T1_T2_lS6_S6_lT3_lS6_S6_lS7_T4_lS6_S6_l ; -- Begin function _ZN9rocsolver6v33100L16mfma_gemm_kernelI19rocblas_complex_numIfElS3_PS3_S4_S4_EEv18rocblas_operation_S5_T0_S6_S6_T1_T2_lS6_S6_lT3_lS6_S6_lS7_T4_lS6_S6_l
	.p2align	8
	.type	_ZN9rocsolver6v33100L16mfma_gemm_kernelI19rocblas_complex_numIfElS3_PS3_S4_S4_EEv18rocblas_operation_S5_T0_S6_S6_T1_T2_lS6_S6_lT3_lS6_S6_lS7_T4_lS6_S6_l,@function
_ZN9rocsolver6v33100L16mfma_gemm_kernelI19rocblas_complex_numIfElS3_PS3_S4_S4_EEv18rocblas_operation_S5_T0_S6_S6_T1_T2_lS6_S6_lT3_lS6_S6_lS7_T4_lS6_S6_l: ; @_ZN9rocsolver6v33100L16mfma_gemm_kernelI19rocblas_complex_numIfElS3_PS3_S4_S4_EEv18rocblas_operation_S5_T0_S6_S6_T1_T2_lS6_S6_lT3_lS6_S6_lS7_T4_lS6_S6_l
; %bb.0:
	s_endpgm
	.section	.rodata,"a",@progbits
	.p2align	6, 0x0
	.amdhsa_kernel _ZN9rocsolver6v33100L16mfma_gemm_kernelI19rocblas_complex_numIfElS3_PS3_S4_S4_EEv18rocblas_operation_S5_T0_S6_S6_T1_T2_lS6_S6_lT3_lS6_S6_lS7_T4_lS6_S6_l
		.amdhsa_group_segment_fixed_size 0
		.amdhsa_private_segment_fixed_size 0
		.amdhsa_kernarg_size 168
		.amdhsa_user_sgpr_count 2
		.amdhsa_user_sgpr_dispatch_ptr 0
		.amdhsa_user_sgpr_queue_ptr 0
		.amdhsa_user_sgpr_kernarg_segment_ptr 1
		.amdhsa_user_sgpr_dispatch_id 0
		.amdhsa_user_sgpr_kernarg_preload_length 0
		.amdhsa_user_sgpr_kernarg_preload_offset 0
		.amdhsa_user_sgpr_private_segment_size 0
		.amdhsa_wavefront_size32 1
		.amdhsa_uses_dynamic_stack 0
		.amdhsa_enable_private_segment 0
		.amdhsa_system_sgpr_workgroup_id_x 1
		.amdhsa_system_sgpr_workgroup_id_y 0
		.amdhsa_system_sgpr_workgroup_id_z 0
		.amdhsa_system_sgpr_workgroup_info 0
		.amdhsa_system_vgpr_workitem_id 0
		.amdhsa_next_free_vgpr 1
		.amdhsa_next_free_sgpr 1
		.amdhsa_named_barrier_count 0
		.amdhsa_reserve_vcc 0
		.amdhsa_float_round_mode_32 0
		.amdhsa_float_round_mode_16_64 0
		.amdhsa_float_denorm_mode_32 3
		.amdhsa_float_denorm_mode_16_64 3
		.amdhsa_fp16_overflow 0
		.amdhsa_memory_ordered 1
		.amdhsa_forward_progress 1
		.amdhsa_inst_pref_size 1
		.amdhsa_round_robin_scheduling 0
		.amdhsa_exception_fp_ieee_invalid_op 0
		.amdhsa_exception_fp_denorm_src 0
		.amdhsa_exception_fp_ieee_div_zero 0
		.amdhsa_exception_fp_ieee_overflow 0
		.amdhsa_exception_fp_ieee_underflow 0
		.amdhsa_exception_fp_ieee_inexact 0
		.amdhsa_exception_int_div_zero 0
	.end_amdhsa_kernel
	.section	.text._ZN9rocsolver6v33100L16mfma_gemm_kernelI19rocblas_complex_numIfElS3_PS3_S4_S4_EEv18rocblas_operation_S5_T0_S6_S6_T1_T2_lS6_S6_lT3_lS6_S6_lS7_T4_lS6_S6_l,"axG",@progbits,_ZN9rocsolver6v33100L16mfma_gemm_kernelI19rocblas_complex_numIfElS3_PS3_S4_S4_EEv18rocblas_operation_S5_T0_S6_S6_T1_T2_lS6_S6_lT3_lS6_S6_lS7_T4_lS6_S6_l,comdat
.Lfunc_end34:
	.size	_ZN9rocsolver6v33100L16mfma_gemm_kernelI19rocblas_complex_numIfElS3_PS3_S4_S4_EEv18rocblas_operation_S5_T0_S6_S6_T1_T2_lS6_S6_lT3_lS6_S6_lS7_T4_lS6_S6_l, .Lfunc_end34-_ZN9rocsolver6v33100L16mfma_gemm_kernelI19rocblas_complex_numIfElS3_PS3_S4_S4_EEv18rocblas_operation_S5_T0_S6_S6_T1_T2_lS6_S6_lT3_lS6_S6_lS7_T4_lS6_S6_l
                                        ; -- End function
	.set _ZN9rocsolver6v33100L16mfma_gemm_kernelI19rocblas_complex_numIfElS3_PS3_S4_S4_EEv18rocblas_operation_S5_T0_S6_S6_T1_T2_lS6_S6_lT3_lS6_S6_lS7_T4_lS6_S6_l.num_vgpr, 0
	.set _ZN9rocsolver6v33100L16mfma_gemm_kernelI19rocblas_complex_numIfElS3_PS3_S4_S4_EEv18rocblas_operation_S5_T0_S6_S6_T1_T2_lS6_S6_lT3_lS6_S6_lS7_T4_lS6_S6_l.num_agpr, 0
	.set _ZN9rocsolver6v33100L16mfma_gemm_kernelI19rocblas_complex_numIfElS3_PS3_S4_S4_EEv18rocblas_operation_S5_T0_S6_S6_T1_T2_lS6_S6_lT3_lS6_S6_lS7_T4_lS6_S6_l.numbered_sgpr, 0
	.set _ZN9rocsolver6v33100L16mfma_gemm_kernelI19rocblas_complex_numIfElS3_PS3_S4_S4_EEv18rocblas_operation_S5_T0_S6_S6_T1_T2_lS6_S6_lT3_lS6_S6_lS7_T4_lS6_S6_l.num_named_barrier, 0
	.set _ZN9rocsolver6v33100L16mfma_gemm_kernelI19rocblas_complex_numIfElS3_PS3_S4_S4_EEv18rocblas_operation_S5_T0_S6_S6_T1_T2_lS6_S6_lT3_lS6_S6_lS7_T4_lS6_S6_l.private_seg_size, 0
	.set _ZN9rocsolver6v33100L16mfma_gemm_kernelI19rocblas_complex_numIfElS3_PS3_S4_S4_EEv18rocblas_operation_S5_T0_S6_S6_T1_T2_lS6_S6_lT3_lS6_S6_lS7_T4_lS6_S6_l.uses_vcc, 0
	.set _ZN9rocsolver6v33100L16mfma_gemm_kernelI19rocblas_complex_numIfElS3_PS3_S4_S4_EEv18rocblas_operation_S5_T0_S6_S6_T1_T2_lS6_S6_lT3_lS6_S6_lS7_T4_lS6_S6_l.uses_flat_scratch, 0
	.set _ZN9rocsolver6v33100L16mfma_gemm_kernelI19rocblas_complex_numIfElS3_PS3_S4_S4_EEv18rocblas_operation_S5_T0_S6_S6_T1_T2_lS6_S6_lT3_lS6_S6_lS7_T4_lS6_S6_l.has_dyn_sized_stack, 0
	.set _ZN9rocsolver6v33100L16mfma_gemm_kernelI19rocblas_complex_numIfElS3_PS3_S4_S4_EEv18rocblas_operation_S5_T0_S6_S6_T1_T2_lS6_S6_lT3_lS6_S6_lS7_T4_lS6_S6_l.has_recursion, 0
	.set _ZN9rocsolver6v33100L16mfma_gemm_kernelI19rocblas_complex_numIfElS3_PS3_S4_S4_EEv18rocblas_operation_S5_T0_S6_S6_T1_T2_lS6_S6_lT3_lS6_S6_lS7_T4_lS6_S6_l.has_indirect_call, 0
	.section	.AMDGPU.csdata,"",@progbits
; Kernel info:
; codeLenInByte = 4
; TotalNumSgprs: 0
; NumVgprs: 0
; ScratchSize: 0
; MemoryBound: 0
; FloatMode: 240
; IeeeMode: 1
; LDSByteSize: 0 bytes/workgroup (compile time only)
; SGPRBlocks: 0
; VGPRBlocks: 0
; NumSGPRsForWavesPerEU: 1
; NumVGPRsForWavesPerEU: 1
; NamedBarCnt: 0
; Occupancy: 16
; WaveLimiterHint : 0
; COMPUTE_PGM_RSRC2:SCRATCH_EN: 0
; COMPUTE_PGM_RSRC2:USER_SGPR: 2
; COMPUTE_PGM_RSRC2:TRAP_HANDLER: 0
; COMPUTE_PGM_RSRC2:TGID_X_EN: 1
; COMPUTE_PGM_RSRC2:TGID_Y_EN: 0
; COMPUTE_PGM_RSRC2:TGID_Z_EN: 0
; COMPUTE_PGM_RSRC2:TIDIG_COMP_CNT: 0
	.section	.text._ZN9rocsolver6v33100L11gemm_kernelI19rocblas_complex_numIfElPKS3_PS3_S6_S6_EEvT0_S7_S7_T1_bT2_lS7_S7_lbT3_lS7_S7_lS8_T4_lS7_S7_l,"axG",@progbits,_ZN9rocsolver6v33100L11gemm_kernelI19rocblas_complex_numIfElPKS3_PS3_S6_S6_EEvT0_S7_S7_T1_bT2_lS7_S7_lbT3_lS7_S7_lS8_T4_lS7_S7_l,comdat
	.globl	_ZN9rocsolver6v33100L11gemm_kernelI19rocblas_complex_numIfElPKS3_PS3_S6_S6_EEvT0_S7_S7_T1_bT2_lS7_S7_lbT3_lS7_S7_lS8_T4_lS7_S7_l ; -- Begin function _ZN9rocsolver6v33100L11gemm_kernelI19rocblas_complex_numIfElPKS3_PS3_S6_S6_EEvT0_S7_S7_T1_bT2_lS7_S7_lbT3_lS7_S7_lS8_T4_lS7_S7_l
	.p2align	8
	.type	_ZN9rocsolver6v33100L11gemm_kernelI19rocblas_complex_numIfElPKS3_PS3_S6_S6_EEvT0_S7_S7_T1_bT2_lS7_S7_lbT3_lS7_S7_lS8_T4_lS7_S7_l,@function
_ZN9rocsolver6v33100L11gemm_kernelI19rocblas_complex_numIfElPKS3_PS3_S6_S6_EEvT0_S7_S7_T1_bT2_lS7_S7_lbT3_lS7_S7_lS8_T4_lS7_S7_l: ; @_ZN9rocsolver6v33100L11gemm_kernelI19rocblas_complex_numIfElPKS3_PS3_S6_S6_EEvT0_S7_S7_T1_bT2_lS7_S7_lbT3_lS7_S7_lS8_T4_lS7_S7_l
; %bb.0:
	s_load_b32 s2, s[0:1], 0xbc
	s_bfe_u32 s4, ttmp6, 0x40010
	s_bfe_u32 s7, ttmp6, 0x4000c
	s_and_b32 s3, ttmp7, 0xffff
	s_add_co_i32 s4, s4, 1
	s_add_co_i32 s7, s7, 1
	s_bfe_u32 s5, ttmp6, 0x40004
	s_and_b32 s6, ttmp6, 15
	s_mul_i32 s4, s3, s4
	s_mul_i32 s7, ttmp9, s7
	s_getreg_b32 s24, hwreg(HW_REG_IB_STS2, 6, 4)
	v_mov_b32_e32 v5, 0
	v_and_b32_e32 v4, 0x3ff, v0
	s_add_co_i32 s5, s5, s4
	s_add_co_i32 s6, s6, s7
	s_load_b256 s[16:23], s[0:1], 0x0
	s_wait_kmcnt 0x0
	s_lshr_b32 s4, s2, 16
	s_and_b32 s2, s2, 0xffff
	s_cmp_eq_u32 s24, 0
	s_cselect_b32 s6, ttmp9, s6
	s_delay_alu instid0(SALU_CYCLE_1) | instskip(SKIP_3) | instid1(VALU_DEP_1)
	v_mad_nc_u64_u32 v[2:3], s2, s6, v[4:5]
	v_bfe_u32 v4, v0, 10, 10
	s_cselect_b32 s2, s3, s5
	s_mov_b32 s3, 0
	v_mad_nc_u64_u32 v[0:1], s4, s2, v[4:5]
	s_delay_alu instid0(VALU_DEP_3) | instskip(NEXT) | instid1(VALU_DEP_2)
	v_cmp_gt_i64_e32 vcc_lo, s[16:17], v[2:3]
	v_cmp_gt_i64_e64 s2, s[18:19], v[0:1]
	s_and_b32 s2, vcc_lo, s2
	s_delay_alu instid0(SALU_CYCLE_1)
	s_and_saveexec_b32 s4, s2
	s_cbranch_execz .LBB35_9
; %bb.1:
	s_load_b512 s[4:19], s[0:1], 0x58
	s_load_b64 s[34:35], s[22:23], 0x0
	s_bfe_u32 s2, ttmp6, 0x40014
	s_bfe_u32 s25, ttmp6, 0x40008
	s_add_co_i32 s2, s2, 1
	v_mov_b32_e32 v4, 0
	s_wait_kmcnt 0x0
	s_load_b64 s[22:23], s[14:15], 0x0
	s_wait_xcnt 0x0
	s_lshr_b32 s14, ttmp7, 16
	v_cmp_lt_i64_e64 s15, s[20:21], 1
	s_mul_i32 s2, s14, s2
	s_delay_alu instid0(SALU_CYCLE_1)
	s_add_co_i32 s25, s25, s2
	s_cmp_eq_u32 s24, 0
	s_cselect_b32 s2, s14, s25
	s_and_b32 vcc_lo, exec_lo, s15
	s_cbranch_vccnz .LBB35_8
; %bb.2:
	s_clause 0x1
	s_load_b256 s[24:31], s[0:1], 0x28
	s_load_b32 s14, s[0:1], 0x20
	v_mul_u64_e32 v[4:5], s[10:11], v[0:1]
	s_load_b96 s[36:38], s[0:1], 0x48
	s_mul_u64 s[12:13], s[12:13], s[2:3]
	s_wait_kmcnt 0x0
	v_mul_u64_e32 v[6:7], s[28:29], v[2:3]
	s_bitcmp1_b32 s14, 0
	s_mul_u64 s[14:15], s[36:37], s[2:3]
	s_cselect_b32 s10, -1, 0
	s_delay_alu instid0(SALU_CYCLE_1)
	s_xor_b32 s10, s10, -1
	s_bitcmp1_b32 s38, 0
	s_cselect_b32 s11, -1, 0
	s_lshl_b64 s[26:27], s[26:27], 3
	s_lshl_b64 s[6:7], s[6:7], 3
	;; [unrolled: 1-line block ×4, first 2 shown]
	s_add_nc_u64 s[24:25], s[24:25], s[26:27]
	s_add_nc_u64 s[4:5], s[4:5], s[6:7]
	;; [unrolled: 1-line block ×4, first 2 shown]
	s_delay_alu instid0(VALU_DEP_2) | instid1(SALU_CYCLE_1)
	v_lshl_add_u64 v[4:5], v[4:5], 3, s[4:5]
	s_lshl_b64 s[4:5], s[30:31], 3
	s_delay_alu instid0(VALU_DEP_1) | instskip(SKIP_1) | instid1(VALU_DEP_4)
	v_add_nc_u64_e32 v[8:9], 4, v[4:5]
	v_dual_mov_b32 v5, 0 :: v_dual_mov_b32 v4, 0
	v_lshl_add_u64 v[6:7], v[6:7], 3, s[6:7]
	s_lshl_b64 s[6:7], s[8:9], 3
	s_delay_alu instid0(VALU_DEP_1)
	v_add_nc_u64_e32 v[6:7], 4, v[6:7]
	s_branch .LBB35_4
.LBB35_3:                               ;   in Loop: Header=BB35_4 Depth=1
	global_load_b64 v[12:13], v[8:9], off offset:-4
	s_wait_xcnt 0x1
	v_add_nc_u64_e32 v[6:7], s[4:5], v[6:7]
	s_wait_xcnt 0x0
	v_add_nc_u64_e32 v[8:9], s[6:7], v[8:9]
	s_add_nc_u64 s[20:21], s[20:21], -1
	s_delay_alu instid0(SALU_CYCLE_1) | instskip(SKIP_2) | instid1(VALU_DEP_1)
	s_cmp_eq_u64 s[20:21], 0
	s_wait_loadcnt 0x0
	v_dual_cndmask_b32 v13, v13, -v13, s11 :: v_dual_mul_f32 v14, v11, v12
	v_dual_mul_f32 v11, v11, v13 :: v_dual_fmac_f32 v14, v13, v10
	s_delay_alu instid0(VALU_DEP_1) | instskip(NEXT) | instid1(VALU_DEP_2)
	v_fma_f32 v10, v12, v10, -v11
	v_add_f32_e32 v5, v5, v14
	s_delay_alu instid0(VALU_DEP_2)
	v_add_f32_e32 v4, v4, v10
	s_cbranch_scc1 .LBB35_8
.LBB35_4:                               ; =>This Inner Loop Header: Depth=1
	s_and_b32 vcc_lo, exec_lo, s10
	s_mov_b32 s8, -1
                                        ; implicit-def: $vgpr11
	s_cbranch_vccz .LBB35_6
; %bb.5:                                ;   in Loop: Header=BB35_4 Depth=1
	global_load_b64 v[10:11], v[6:7], off offset:-4
	s_mov_b32 s8, 0
.LBB35_6:                               ;   in Loop: Header=BB35_4 Depth=1
	s_delay_alu instid0(SALU_CYCLE_1)
	s_and_not1_b32 vcc_lo, exec_lo, s8
	s_cbranch_vccnz .LBB35_3
; %bb.7:                                ;   in Loop: Header=BB35_4 Depth=1
	s_wait_loadcnt 0x0
	global_load_b64 v[10:11], v[6:7], off offset:-4
	s_wait_loadcnt 0x0
	v_xor_b32_e32 v11, 0x80000000, v11
	s_branch .LBB35_3
.LBB35_8:
	s_clause 0x1
	s_load_b128 s[4:7], s[0:1], 0x98
	s_load_b64 s[8:9], s[0:1], 0xa8
	v_mov_b64_e32 v[8:9], s[34:35]
	s_wait_kmcnt 0x0
	v_mov_b64_e32 v[10:11], s[22:23]
	v_mov_b32_e32 v6, v5
	s_delay_alu instid0(VALU_DEP_1) | instskip(NEXT) | instid1(VALU_DEP_1)
	v_pk_mul_f32 v[6:7], v[8:9], v[6:7] op_sel:[1,0] op_sel_hi:[0,0]
	v_pk_fma_f32 v[14:15], v[8:9], v[4:5], v[6:7] op_sel_hi:[1,0,1]
	v_pk_fma_f32 v[4:5], v[8:9], v[4:5], v[6:7] neg_lo:[0,0,1] neg_hi:[0,0,1]
	s_delay_alu instid0(VALU_DEP_2)
	v_mov_b32_e32 v5, v15
	v_mul_u64_e32 v[2:3], s[4:5], v[2:3]
	v_mul_u64_e32 v[0:1], s[6:7], v[0:1]
	s_mul_u64 s[0:1], s[8:9], s[2:3]
	s_lshl_b64 s[2:3], s[18:19], 3
	s_lshl_b64 s[0:1], s[0:1], 3
	s_delay_alu instid0(SALU_CYCLE_1) | instskip(NEXT) | instid1(SALU_CYCLE_1)
	s_add_nc_u64 s[0:1], s[16:17], s[0:1]
	s_add_nc_u64 s[0:1], s[0:1], s[2:3]
	s_delay_alu instid0(VALU_DEP_2) | instid1(SALU_CYCLE_1)
	v_lshl_add_u64 v[2:3], v[2:3], 3, s[0:1]
	s_delay_alu instid0(VALU_DEP_1) | instskip(SKIP_3) | instid1(VALU_DEP_1)
	v_lshl_add_u64 v[0:1], v[0:1], 3, v[2:3]
	global_load_b64 v[2:3], v[0:1], off
	s_wait_loadcnt 0x0
	v_pk_mul_f32 v[12:13], v[10:11], v[2:3] op_sel:[1,1] op_sel_hi:[0,1]
	v_pk_fma_f32 v[16:17], v[10:11], v[2:3], v[12:13] op_sel_hi:[1,0,1]
	v_pk_fma_f32 v[2:3], v[10:11], v[2:3], v[12:13] neg_lo:[0,0,1] neg_hi:[0,0,1]
	s_delay_alu instid0(VALU_DEP_2) | instskip(NEXT) | instid1(VALU_DEP_1)
	v_mov_b32_e32 v3, v17
	v_pk_add_f32 v[2:3], v[4:5], v[2:3]
	global_store_b64 v[0:1], v[2:3], off
.LBB35_9:
	s_endpgm
	.section	.rodata,"a",@progbits
	.p2align	6, 0x0
	.amdhsa_kernel _ZN9rocsolver6v33100L11gemm_kernelI19rocblas_complex_numIfElPKS3_PS3_S6_S6_EEvT0_S7_S7_T1_bT2_lS7_S7_lbT3_lS7_S7_lS8_T4_lS7_S7_l
		.amdhsa_group_segment_fixed_size 0
		.amdhsa_private_segment_fixed_size 0
		.amdhsa_kernarg_size 432
		.amdhsa_user_sgpr_count 2
		.amdhsa_user_sgpr_dispatch_ptr 0
		.amdhsa_user_sgpr_queue_ptr 0
		.amdhsa_user_sgpr_kernarg_segment_ptr 1
		.amdhsa_user_sgpr_dispatch_id 0
		.amdhsa_user_sgpr_kernarg_preload_length 0
		.amdhsa_user_sgpr_kernarg_preload_offset 0
		.amdhsa_user_sgpr_private_segment_size 0
		.amdhsa_wavefront_size32 1
		.amdhsa_uses_dynamic_stack 0
		.amdhsa_enable_private_segment 0
		.amdhsa_system_sgpr_workgroup_id_x 1
		.amdhsa_system_sgpr_workgroup_id_y 1
		.amdhsa_system_sgpr_workgroup_id_z 1
		.amdhsa_system_sgpr_workgroup_info 0
		.amdhsa_system_vgpr_workitem_id 1
		.amdhsa_next_free_vgpr 18
		.amdhsa_next_free_sgpr 39
		.amdhsa_named_barrier_count 0
		.amdhsa_reserve_vcc 1
		.amdhsa_float_round_mode_32 0
		.amdhsa_float_round_mode_16_64 0
		.amdhsa_float_denorm_mode_32 3
		.amdhsa_float_denorm_mode_16_64 3
		.amdhsa_fp16_overflow 0
		.amdhsa_memory_ordered 1
		.amdhsa_forward_progress 1
		.amdhsa_inst_pref_size 7
		.amdhsa_round_robin_scheduling 0
		.amdhsa_exception_fp_ieee_invalid_op 0
		.amdhsa_exception_fp_denorm_src 0
		.amdhsa_exception_fp_ieee_div_zero 0
		.amdhsa_exception_fp_ieee_overflow 0
		.amdhsa_exception_fp_ieee_underflow 0
		.amdhsa_exception_fp_ieee_inexact 0
		.amdhsa_exception_int_div_zero 0
	.end_amdhsa_kernel
	.section	.text._ZN9rocsolver6v33100L11gemm_kernelI19rocblas_complex_numIfElPKS3_PS3_S6_S6_EEvT0_S7_S7_T1_bT2_lS7_S7_lbT3_lS7_S7_lS8_T4_lS7_S7_l,"axG",@progbits,_ZN9rocsolver6v33100L11gemm_kernelI19rocblas_complex_numIfElPKS3_PS3_S6_S6_EEvT0_S7_S7_T1_bT2_lS7_S7_lbT3_lS7_S7_lS8_T4_lS7_S7_l,comdat
.Lfunc_end35:
	.size	_ZN9rocsolver6v33100L11gemm_kernelI19rocblas_complex_numIfElPKS3_PS3_S6_S6_EEvT0_S7_S7_T1_bT2_lS7_S7_lbT3_lS7_S7_lS8_T4_lS7_S7_l, .Lfunc_end35-_ZN9rocsolver6v33100L11gemm_kernelI19rocblas_complex_numIfElPKS3_PS3_S6_S6_EEvT0_S7_S7_T1_bT2_lS7_S7_lbT3_lS7_S7_lS8_T4_lS7_S7_l
                                        ; -- End function
	.set _ZN9rocsolver6v33100L11gemm_kernelI19rocblas_complex_numIfElPKS3_PS3_S6_S6_EEvT0_S7_S7_T1_bT2_lS7_S7_lbT3_lS7_S7_lS8_T4_lS7_S7_l.num_vgpr, 18
	.set _ZN9rocsolver6v33100L11gemm_kernelI19rocblas_complex_numIfElPKS3_PS3_S6_S6_EEvT0_S7_S7_T1_bT2_lS7_S7_lbT3_lS7_S7_lS8_T4_lS7_S7_l.num_agpr, 0
	.set _ZN9rocsolver6v33100L11gemm_kernelI19rocblas_complex_numIfElPKS3_PS3_S6_S6_EEvT0_S7_S7_T1_bT2_lS7_S7_lbT3_lS7_S7_lS8_T4_lS7_S7_l.numbered_sgpr, 39
	.set _ZN9rocsolver6v33100L11gemm_kernelI19rocblas_complex_numIfElPKS3_PS3_S6_S6_EEvT0_S7_S7_T1_bT2_lS7_S7_lbT3_lS7_S7_lS8_T4_lS7_S7_l.num_named_barrier, 0
	.set _ZN9rocsolver6v33100L11gemm_kernelI19rocblas_complex_numIfElPKS3_PS3_S6_S6_EEvT0_S7_S7_T1_bT2_lS7_S7_lbT3_lS7_S7_lS8_T4_lS7_S7_l.private_seg_size, 0
	.set _ZN9rocsolver6v33100L11gemm_kernelI19rocblas_complex_numIfElPKS3_PS3_S6_S6_EEvT0_S7_S7_T1_bT2_lS7_S7_lbT3_lS7_S7_lS8_T4_lS7_S7_l.uses_vcc, 1
	.set _ZN9rocsolver6v33100L11gemm_kernelI19rocblas_complex_numIfElPKS3_PS3_S6_S6_EEvT0_S7_S7_T1_bT2_lS7_S7_lbT3_lS7_S7_lS8_T4_lS7_S7_l.uses_flat_scratch, 0
	.set _ZN9rocsolver6v33100L11gemm_kernelI19rocblas_complex_numIfElPKS3_PS3_S6_S6_EEvT0_S7_S7_T1_bT2_lS7_S7_lbT3_lS7_S7_lS8_T4_lS7_S7_l.has_dyn_sized_stack, 0
	.set _ZN9rocsolver6v33100L11gemm_kernelI19rocblas_complex_numIfElPKS3_PS3_S6_S6_EEvT0_S7_S7_T1_bT2_lS7_S7_lbT3_lS7_S7_lS8_T4_lS7_S7_l.has_recursion, 0
	.set _ZN9rocsolver6v33100L11gemm_kernelI19rocblas_complex_numIfElPKS3_PS3_S6_S6_EEvT0_S7_S7_T1_bT2_lS7_S7_lbT3_lS7_S7_lS8_T4_lS7_S7_l.has_indirect_call, 0
	.section	.AMDGPU.csdata,"",@progbits
; Kernel info:
; codeLenInByte = 804
; TotalNumSgprs: 41
; NumVgprs: 18
; ScratchSize: 0
; MemoryBound: 0
; FloatMode: 240
; IeeeMode: 1
; LDSByteSize: 0 bytes/workgroup (compile time only)
; SGPRBlocks: 0
; VGPRBlocks: 1
; NumSGPRsForWavesPerEU: 41
; NumVGPRsForWavesPerEU: 18
; NamedBarCnt: 0
; Occupancy: 16
; WaveLimiterHint : 0
; COMPUTE_PGM_RSRC2:SCRATCH_EN: 0
; COMPUTE_PGM_RSRC2:USER_SGPR: 2
; COMPUTE_PGM_RSRC2:TRAP_HANDLER: 0
; COMPUTE_PGM_RSRC2:TGID_X_EN: 1
; COMPUTE_PGM_RSRC2:TGID_Y_EN: 1
; COMPUTE_PGM_RSRC2:TGID_Z_EN: 1
; COMPUTE_PGM_RSRC2:TIDIG_COMP_CNT: 1
	.section	.text._ZN9rocsolver6v33100L11gemm_kernelI19rocblas_complex_numIfElS3_PS3_S4_S4_EEvT0_S5_S5_T1_bT2_lS5_S5_lbT3_lS5_S5_lS6_T4_lS5_S5_l,"axG",@progbits,_ZN9rocsolver6v33100L11gemm_kernelI19rocblas_complex_numIfElS3_PS3_S4_S4_EEvT0_S5_S5_T1_bT2_lS5_S5_lbT3_lS5_S5_lS6_T4_lS5_S5_l,comdat
	.globl	_ZN9rocsolver6v33100L11gemm_kernelI19rocblas_complex_numIfElS3_PS3_S4_S4_EEvT0_S5_S5_T1_bT2_lS5_S5_lbT3_lS5_S5_lS6_T4_lS5_S5_l ; -- Begin function _ZN9rocsolver6v33100L11gemm_kernelI19rocblas_complex_numIfElS3_PS3_S4_S4_EEvT0_S5_S5_T1_bT2_lS5_S5_lbT3_lS5_S5_lS6_T4_lS5_S5_l
	.p2align	8
	.type	_ZN9rocsolver6v33100L11gemm_kernelI19rocblas_complex_numIfElS3_PS3_S4_S4_EEvT0_S5_S5_T1_bT2_lS5_S5_lbT3_lS5_S5_lS6_T4_lS5_S5_l,@function
_ZN9rocsolver6v33100L11gemm_kernelI19rocblas_complex_numIfElS3_PS3_S4_S4_EEvT0_S5_S5_T1_bT2_lS5_S5_lbT3_lS5_S5_lS6_T4_lS5_S5_l: ; @_ZN9rocsolver6v33100L11gemm_kernelI19rocblas_complex_numIfElS3_PS3_S4_S4_EEvT0_S5_S5_T1_bT2_lS5_S5_lbT3_lS5_S5_lS6_T4_lS5_S5_l
; %bb.0:
	s_clause 0x1
	s_load_b32 s2, s[0:1], 0xbc
	s_load_b128 s[8:11], s[0:1], 0x0
	s_bfe_u32 s5, ttmp6, 0x40010
	s_bfe_u32 s12, ttmp6, 0x4000c
	s_and_b32 s3, ttmp7, 0xffff
	s_add_co_i32 s5, s5, 1
	s_add_co_i32 s12, s12, 1
	s_bfe_u32 s6, ttmp6, 0x40004
	s_and_b32 s7, ttmp6, 15
	s_mul_i32 s5, s3, s5
	s_mul_i32 s12, ttmp9, s12
	s_getreg_b32 s4, hwreg(HW_REG_IB_STS2, 6, 4)
	v_mov_b32_e32 v5, 0
	v_and_b32_e32 v4, 0x3ff, v0
	s_add_co_i32 s6, s6, s5
	s_add_co_i32 s7, s7, s12
	s_mov_b32 s25, 0
	s_wait_kmcnt 0x0
	s_lshr_b32 s5, s2, 16
	s_and_b32 s2, s2, 0xffff
	s_cmp_eq_u32 s4, 0
	s_cselect_b32 s7, ttmp9, s7
	s_delay_alu instid0(SALU_CYCLE_1)
	v_mad_nc_u64_u32 v[2:3], s2, s7, v[4:5]
	v_bfe_u32 v4, v0, 10, 10
	s_cselect_b32 s2, s3, s6
	s_delay_alu instid0(VALU_DEP_1) | instid1(SALU_CYCLE_1)
	v_mad_nc_u64_u32 v[0:1], s5, s2, v[4:5]
	s_delay_alu instid0(VALU_DEP_3) | instskip(NEXT) | instid1(VALU_DEP_2)
	v_cmp_gt_i64_e32 vcc_lo, s[8:9], v[2:3]
	v_cmp_gt_i64_e64 s2, s[10:11], v[0:1]
	s_and_b32 s2, vcc_lo, s2
	s_delay_alu instid0(SALU_CYCLE_1)
	s_and_saveexec_b32 s3, s2
	s_cbranch_execz .LBB36_9
; %bb.1:
	s_clause 0x2
	s_load_b64 s[26:27], s[0:1], 0x10
	s_load_b96 s[20:22], s[0:1], 0x18
	s_load_b64 s[2:3], s[0:1], 0x80
	s_bfe_u32 s6, ttmp6, 0x40014
	s_lshr_b32 s5, ttmp7, 16
	s_add_co_i32 s6, s6, 1
	s_bfe_u32 s7, ttmp6, 0x40008
	s_mul_i32 s6, s5, s6
	v_mov_b32_e32 v4, 0
	s_add_co_i32 s7, s7, s6
	s_cmp_eq_u32 s4, 0
	s_cselect_b32 s24, s5, s7
	s_wait_kmcnt 0x0
	v_cmp_lt_i64_e64 s8, s[26:27], 1
	s_and_b32 vcc_lo, exec_lo, s8
	s_cbranch_vccnz .LBB36_8
; %bb.2:
	s_clause 0x2
	s_load_b256 s[4:11], s[0:1], 0x28
	s_load_b256 s[12:19], s[0:1], 0x58
	s_load_b96 s[28:30], s[0:1], 0x48
	s_bitcmp1_b32 s22, 0
	s_wait_kmcnt 0x0
	v_mul_u64_e32 v[4:5], s[8:9], v[2:3]
	v_mul_u64_e32 v[6:7], s[18:19], v[0:1]
	s_load_b64 s[18:19], s[0:1], 0x78
	s_cselect_b32 s8, -1, 0
	s_mul_u64 s[22:23], s[28:29], s[24:25]
	s_xor_b32 s8, s8, -1
	s_bitcmp1_b32 s30, 0
	s_cselect_b32 s9, -1, 0
	s_lshl_b64 s[6:7], s[6:7], 3
	s_lshl_b64 s[14:15], s[14:15], 3
	;; [unrolled: 1-line block ×3, first 2 shown]
	s_add_nc_u64 s[4:5], s[4:5], s[6:7]
	s_add_nc_u64 s[6:7], s[12:13], s[14:15]
	;; [unrolled: 1-line block ×3, first 2 shown]
	s_wait_kmcnt 0x0
	s_mul_u64 s[18:19], s[18:19], s[24:25]
	s_delay_alu instid0(SALU_CYCLE_1) | instskip(NEXT) | instid1(SALU_CYCLE_1)
	s_lshl_b64 s[18:19], s[18:19], 3
	s_add_nc_u64 s[6:7], s[6:7], s[18:19]
	s_delay_alu instid0(VALU_DEP_2) | instskip(NEXT) | instid1(VALU_DEP_2)
	v_lshl_add_u64 v[4:5], v[4:5], 3, s[4:5]
	v_lshl_add_u64 v[8:9], v[6:7], 3, s[6:7]
	s_lshl_b64 s[4:5], s[10:11], 3
	s_lshl_b64 s[6:7], s[16:17], 3
	s_delay_alu instid0(VALU_DEP_2) | instskip(NEXT) | instid1(VALU_DEP_2)
	v_add_nc_u64_e32 v[6:7], 4, v[4:5]
	v_add_nc_u64_e32 v[8:9], 4, v[8:9]
	v_dual_mov_b32 v5, 0 :: v_dual_mov_b32 v4, 0
	s_branch .LBB36_4
.LBB36_3:                               ;   in Loop: Header=BB36_4 Depth=1
	global_load_b64 v[12:13], v[8:9], off offset:-4
	s_wait_xcnt 0x1
	v_add_nc_u64_e32 v[6:7], s[4:5], v[6:7]
	s_wait_xcnt 0x0
	v_add_nc_u64_e32 v[8:9], s[6:7], v[8:9]
	s_add_nc_u64 s[26:27], s[26:27], -1
	s_delay_alu instid0(SALU_CYCLE_1) | instskip(SKIP_2) | instid1(VALU_DEP_1)
	s_cmp_eq_u64 s[26:27], 0
	s_wait_loadcnt 0x0
	v_dual_cndmask_b32 v13, v13, -v13, s9 :: v_dual_mul_f32 v14, v11, v12
	v_dual_mul_f32 v11, v11, v13 :: v_dual_fmac_f32 v14, v13, v10
	s_delay_alu instid0(VALU_DEP_1) | instskip(NEXT) | instid1(VALU_DEP_2)
	v_fma_f32 v10, v12, v10, -v11
	v_add_f32_e32 v5, v5, v14
	s_delay_alu instid0(VALU_DEP_2)
	v_add_f32_e32 v4, v4, v10
	s_cbranch_scc1 .LBB36_8
.LBB36_4:                               ; =>This Inner Loop Header: Depth=1
	s_and_b32 vcc_lo, exec_lo, s8
	s_mov_b32 s10, -1
                                        ; implicit-def: $vgpr11
	s_cbranch_vccz .LBB36_6
; %bb.5:                                ;   in Loop: Header=BB36_4 Depth=1
	global_load_b64 v[10:11], v[6:7], off offset:-4
	s_mov_b32 s10, 0
.LBB36_6:                               ;   in Loop: Header=BB36_4 Depth=1
	s_delay_alu instid0(SALU_CYCLE_1)
	s_and_not1_b32 vcc_lo, exec_lo, s10
	s_cbranch_vccnz .LBB36_3
; %bb.7:                                ;   in Loop: Header=BB36_4 Depth=1
	s_wait_loadcnt 0x0
	global_load_b64 v[10:11], v[6:7], off offset:-4
	s_wait_loadcnt 0x0
	v_xor_b32_e32 v11, 0x80000000, v11
	s_branch .LBB36_3
.LBB36_8:
	s_load_b256 s[4:11], s[0:1], 0x88
	v_mov_b64_e32 v[8:9], s[20:21]
	s_wait_xcnt 0x0
	s_load_b64 s[0:1], s[0:1], 0xa8
	v_mov_b64_e32 v[10:11], s[2:3]
	v_mov_b32_e32 v6, v5
	s_delay_alu instid0(VALU_DEP_1) | instskip(NEXT) | instid1(VALU_DEP_1)
	v_pk_mul_f32 v[6:7], v[8:9], v[6:7] op_sel:[1,0] op_sel_hi:[0,0]
	v_pk_fma_f32 v[14:15], v[8:9], v[4:5], v[6:7] op_sel_hi:[1,0,1]
	v_pk_fma_f32 v[4:5], v[8:9], v[4:5], v[6:7] neg_lo:[0,0,1] neg_hi:[0,0,1]
	s_delay_alu instid0(VALU_DEP_2) | instskip(SKIP_4) | instid1(SALU_CYCLE_1)
	v_mov_b32_e32 v5, v15
	s_wait_kmcnt 0x0
	v_mul_u64_e32 v[2:3], s[8:9], v[2:3]
	v_mul_u64_e32 v[0:1], s[10:11], v[0:1]
	s_mul_u64 s[0:1], s[0:1], s[24:25]
	s_lshl_b64 s[0:1], s[0:1], 3
	s_delay_alu instid0(SALU_CYCLE_1) | instskip(SKIP_1) | instid1(SALU_CYCLE_1)
	s_add_nc_u64 s[0:1], s[4:5], s[0:1]
	s_lshl_b64 s[4:5], s[6:7], 3
	s_add_nc_u64 s[0:1], s[0:1], s[4:5]
	s_delay_alu instid0(VALU_DEP_2) | instid1(SALU_CYCLE_1)
	v_lshl_add_u64 v[2:3], v[2:3], 3, s[0:1]
	s_delay_alu instid0(VALU_DEP_1) | instskip(SKIP_3) | instid1(VALU_DEP_1)
	v_lshl_add_u64 v[0:1], v[0:1], 3, v[2:3]
	global_load_b64 v[2:3], v[0:1], off
	s_wait_loadcnt 0x0
	v_pk_mul_f32 v[12:13], v[10:11], v[2:3] op_sel:[1,1] op_sel_hi:[0,1]
	v_pk_fma_f32 v[16:17], v[10:11], v[2:3], v[12:13] op_sel_hi:[1,0,1]
	v_pk_fma_f32 v[2:3], v[10:11], v[2:3], v[12:13] neg_lo:[0,0,1] neg_hi:[0,0,1]
	s_delay_alu instid0(VALU_DEP_2) | instskip(NEXT) | instid1(VALU_DEP_1)
	v_mov_b32_e32 v3, v17
	v_pk_add_f32 v[2:3], v[4:5], v[2:3]
	global_store_b64 v[0:1], v[2:3], off
.LBB36_9:
	s_endpgm
	.section	.rodata,"a",@progbits
	.p2align	6, 0x0
	.amdhsa_kernel _ZN9rocsolver6v33100L11gemm_kernelI19rocblas_complex_numIfElS3_PS3_S4_S4_EEvT0_S5_S5_T1_bT2_lS5_S5_lbT3_lS5_S5_lS6_T4_lS5_S5_l
		.amdhsa_group_segment_fixed_size 0
		.amdhsa_private_segment_fixed_size 0
		.amdhsa_kernarg_size 432
		.amdhsa_user_sgpr_count 2
		.amdhsa_user_sgpr_dispatch_ptr 0
		.amdhsa_user_sgpr_queue_ptr 0
		.amdhsa_user_sgpr_kernarg_segment_ptr 1
		.amdhsa_user_sgpr_dispatch_id 0
		.amdhsa_user_sgpr_kernarg_preload_length 0
		.amdhsa_user_sgpr_kernarg_preload_offset 0
		.amdhsa_user_sgpr_private_segment_size 0
		.amdhsa_wavefront_size32 1
		.amdhsa_uses_dynamic_stack 0
		.amdhsa_enable_private_segment 0
		.amdhsa_system_sgpr_workgroup_id_x 1
		.amdhsa_system_sgpr_workgroup_id_y 1
		.amdhsa_system_sgpr_workgroup_id_z 1
		.amdhsa_system_sgpr_workgroup_info 0
		.amdhsa_system_vgpr_workitem_id 1
		.amdhsa_next_free_vgpr 18
		.amdhsa_next_free_sgpr 31
		.amdhsa_named_barrier_count 0
		.amdhsa_reserve_vcc 1
		.amdhsa_float_round_mode_32 0
		.amdhsa_float_round_mode_16_64 0
		.amdhsa_float_denorm_mode_32 3
		.amdhsa_float_denorm_mode_16_64 3
		.amdhsa_fp16_overflow 0
		.amdhsa_memory_ordered 1
		.amdhsa_forward_progress 1
		.amdhsa_inst_pref_size 7
		.amdhsa_round_robin_scheduling 0
		.amdhsa_exception_fp_ieee_invalid_op 0
		.amdhsa_exception_fp_denorm_src 0
		.amdhsa_exception_fp_ieee_div_zero 0
		.amdhsa_exception_fp_ieee_overflow 0
		.amdhsa_exception_fp_ieee_underflow 0
		.amdhsa_exception_fp_ieee_inexact 0
		.amdhsa_exception_int_div_zero 0
	.end_amdhsa_kernel
	.section	.text._ZN9rocsolver6v33100L11gemm_kernelI19rocblas_complex_numIfElS3_PS3_S4_S4_EEvT0_S5_S5_T1_bT2_lS5_S5_lbT3_lS5_S5_lS6_T4_lS5_S5_l,"axG",@progbits,_ZN9rocsolver6v33100L11gemm_kernelI19rocblas_complex_numIfElS3_PS3_S4_S4_EEvT0_S5_S5_T1_bT2_lS5_S5_lbT3_lS5_S5_lS6_T4_lS5_S5_l,comdat
.Lfunc_end36:
	.size	_ZN9rocsolver6v33100L11gemm_kernelI19rocblas_complex_numIfElS3_PS3_S4_S4_EEvT0_S5_S5_T1_bT2_lS5_S5_lbT3_lS5_S5_lS6_T4_lS5_S5_l, .Lfunc_end36-_ZN9rocsolver6v33100L11gemm_kernelI19rocblas_complex_numIfElS3_PS3_S4_S4_EEvT0_S5_S5_T1_bT2_lS5_S5_lbT3_lS5_S5_lS6_T4_lS5_S5_l
                                        ; -- End function
	.set _ZN9rocsolver6v33100L11gemm_kernelI19rocblas_complex_numIfElS3_PS3_S4_S4_EEvT0_S5_S5_T1_bT2_lS5_S5_lbT3_lS5_S5_lS6_T4_lS5_S5_l.num_vgpr, 18
	.set _ZN9rocsolver6v33100L11gemm_kernelI19rocblas_complex_numIfElS3_PS3_S4_S4_EEvT0_S5_S5_T1_bT2_lS5_S5_lbT3_lS5_S5_lS6_T4_lS5_S5_l.num_agpr, 0
	.set _ZN9rocsolver6v33100L11gemm_kernelI19rocblas_complex_numIfElS3_PS3_S4_S4_EEvT0_S5_S5_T1_bT2_lS5_S5_lbT3_lS5_S5_lS6_T4_lS5_S5_l.numbered_sgpr, 31
	.set _ZN9rocsolver6v33100L11gemm_kernelI19rocblas_complex_numIfElS3_PS3_S4_S4_EEvT0_S5_S5_T1_bT2_lS5_S5_lbT3_lS5_S5_lS6_T4_lS5_S5_l.num_named_barrier, 0
	.set _ZN9rocsolver6v33100L11gemm_kernelI19rocblas_complex_numIfElS3_PS3_S4_S4_EEvT0_S5_S5_T1_bT2_lS5_S5_lbT3_lS5_S5_lS6_T4_lS5_S5_l.private_seg_size, 0
	.set _ZN9rocsolver6v33100L11gemm_kernelI19rocblas_complex_numIfElS3_PS3_S4_S4_EEvT0_S5_S5_T1_bT2_lS5_S5_lbT3_lS5_S5_lS6_T4_lS5_S5_l.uses_vcc, 1
	.set _ZN9rocsolver6v33100L11gemm_kernelI19rocblas_complex_numIfElS3_PS3_S4_S4_EEvT0_S5_S5_T1_bT2_lS5_S5_lbT3_lS5_S5_lS6_T4_lS5_S5_l.uses_flat_scratch, 0
	.set _ZN9rocsolver6v33100L11gemm_kernelI19rocblas_complex_numIfElS3_PS3_S4_S4_EEvT0_S5_S5_T1_bT2_lS5_S5_lbT3_lS5_S5_lS6_T4_lS5_S5_l.has_dyn_sized_stack, 0
	.set _ZN9rocsolver6v33100L11gemm_kernelI19rocblas_complex_numIfElS3_PS3_S4_S4_EEvT0_S5_S5_T1_bT2_lS5_S5_lbT3_lS5_S5_lS6_T4_lS5_S5_l.has_recursion, 0
	.set _ZN9rocsolver6v33100L11gemm_kernelI19rocblas_complex_numIfElS3_PS3_S4_S4_EEvT0_S5_S5_T1_bT2_lS5_S5_lbT3_lS5_S5_lS6_T4_lS5_S5_l.has_indirect_call, 0
	.section	.AMDGPU.csdata,"",@progbits
; Kernel info:
; codeLenInByte = 816
; TotalNumSgprs: 33
; NumVgprs: 18
; ScratchSize: 0
; MemoryBound: 0
; FloatMode: 240
; IeeeMode: 1
; LDSByteSize: 0 bytes/workgroup (compile time only)
; SGPRBlocks: 0
; VGPRBlocks: 1
; NumSGPRsForWavesPerEU: 33
; NumVGPRsForWavesPerEU: 18
; NamedBarCnt: 0
; Occupancy: 16
; WaveLimiterHint : 1
; COMPUTE_PGM_RSRC2:SCRATCH_EN: 0
; COMPUTE_PGM_RSRC2:USER_SGPR: 2
; COMPUTE_PGM_RSRC2:TRAP_HANDLER: 0
; COMPUTE_PGM_RSRC2:TGID_X_EN: 1
; COMPUTE_PGM_RSRC2:TGID_Y_EN: 1
; COMPUTE_PGM_RSRC2:TGID_Z_EN: 1
; COMPUTE_PGM_RSRC2:TIDIG_COMP_CNT: 1
	.section	.text._ZN9rocsolver6v33100L16mfma_gemm_kernelI19rocblas_complex_numIfElPKS3_PKPS3_S8_S8_EEv18rocblas_operation_S9_T0_SA_SA_T1_T2_lSA_SA_lT3_lSA_SA_lSB_T4_lSA_SA_l,"axG",@progbits,_ZN9rocsolver6v33100L16mfma_gemm_kernelI19rocblas_complex_numIfElPKS3_PKPS3_S8_S8_EEv18rocblas_operation_S9_T0_SA_SA_T1_T2_lSA_SA_lT3_lSA_SA_lSB_T4_lSA_SA_l,comdat
	.globl	_ZN9rocsolver6v33100L16mfma_gemm_kernelI19rocblas_complex_numIfElPKS3_PKPS3_S8_S8_EEv18rocblas_operation_S9_T0_SA_SA_T1_T2_lSA_SA_lT3_lSA_SA_lSB_T4_lSA_SA_l ; -- Begin function _ZN9rocsolver6v33100L16mfma_gemm_kernelI19rocblas_complex_numIfElPKS3_PKPS3_S8_S8_EEv18rocblas_operation_S9_T0_SA_SA_T1_T2_lSA_SA_lT3_lSA_SA_lSB_T4_lSA_SA_l
	.p2align	8
	.type	_ZN9rocsolver6v33100L16mfma_gemm_kernelI19rocblas_complex_numIfElPKS3_PKPS3_S8_S8_EEv18rocblas_operation_S9_T0_SA_SA_T1_T2_lSA_SA_lT3_lSA_SA_lSB_T4_lSA_SA_l,@function
_ZN9rocsolver6v33100L16mfma_gemm_kernelI19rocblas_complex_numIfElPKS3_PKPS3_S8_S8_EEv18rocblas_operation_S9_T0_SA_SA_T1_T2_lSA_SA_lT3_lSA_SA_lSB_T4_lSA_SA_l: ; @_ZN9rocsolver6v33100L16mfma_gemm_kernelI19rocblas_complex_numIfElPKS3_PKPS3_S8_S8_EEv18rocblas_operation_S9_T0_SA_SA_T1_T2_lSA_SA_lT3_lSA_SA_lSB_T4_lSA_SA_l
; %bb.0:
	s_endpgm
	.section	.rodata,"a",@progbits
	.p2align	6, 0x0
	.amdhsa_kernel _ZN9rocsolver6v33100L16mfma_gemm_kernelI19rocblas_complex_numIfElPKS3_PKPS3_S8_S8_EEv18rocblas_operation_S9_T0_SA_SA_T1_T2_lSA_SA_lT3_lSA_SA_lSB_T4_lSA_SA_l
		.amdhsa_group_segment_fixed_size 0
		.amdhsa_private_segment_fixed_size 0
		.amdhsa_kernarg_size 168
		.amdhsa_user_sgpr_count 2
		.amdhsa_user_sgpr_dispatch_ptr 0
		.amdhsa_user_sgpr_queue_ptr 0
		.amdhsa_user_sgpr_kernarg_segment_ptr 1
		.amdhsa_user_sgpr_dispatch_id 0
		.amdhsa_user_sgpr_kernarg_preload_length 0
		.amdhsa_user_sgpr_kernarg_preload_offset 0
		.amdhsa_user_sgpr_private_segment_size 0
		.amdhsa_wavefront_size32 1
		.amdhsa_uses_dynamic_stack 0
		.amdhsa_enable_private_segment 0
		.amdhsa_system_sgpr_workgroup_id_x 1
		.amdhsa_system_sgpr_workgroup_id_y 0
		.amdhsa_system_sgpr_workgroup_id_z 0
		.amdhsa_system_sgpr_workgroup_info 0
		.amdhsa_system_vgpr_workitem_id 0
		.amdhsa_next_free_vgpr 1
		.amdhsa_next_free_sgpr 1
		.amdhsa_named_barrier_count 0
		.amdhsa_reserve_vcc 0
		.amdhsa_float_round_mode_32 0
		.amdhsa_float_round_mode_16_64 0
		.amdhsa_float_denorm_mode_32 3
		.amdhsa_float_denorm_mode_16_64 3
		.amdhsa_fp16_overflow 0
		.amdhsa_memory_ordered 1
		.amdhsa_forward_progress 1
		.amdhsa_inst_pref_size 1
		.amdhsa_round_robin_scheduling 0
		.amdhsa_exception_fp_ieee_invalid_op 0
		.amdhsa_exception_fp_denorm_src 0
		.amdhsa_exception_fp_ieee_div_zero 0
		.amdhsa_exception_fp_ieee_overflow 0
		.amdhsa_exception_fp_ieee_underflow 0
		.amdhsa_exception_fp_ieee_inexact 0
		.amdhsa_exception_int_div_zero 0
	.end_amdhsa_kernel
	.section	.text._ZN9rocsolver6v33100L16mfma_gemm_kernelI19rocblas_complex_numIfElPKS3_PKPS3_S8_S8_EEv18rocblas_operation_S9_T0_SA_SA_T1_T2_lSA_SA_lT3_lSA_SA_lSB_T4_lSA_SA_l,"axG",@progbits,_ZN9rocsolver6v33100L16mfma_gemm_kernelI19rocblas_complex_numIfElPKS3_PKPS3_S8_S8_EEv18rocblas_operation_S9_T0_SA_SA_T1_T2_lSA_SA_lT3_lSA_SA_lSB_T4_lSA_SA_l,comdat
.Lfunc_end37:
	.size	_ZN9rocsolver6v33100L16mfma_gemm_kernelI19rocblas_complex_numIfElPKS3_PKPS3_S8_S8_EEv18rocblas_operation_S9_T0_SA_SA_T1_T2_lSA_SA_lT3_lSA_SA_lSB_T4_lSA_SA_l, .Lfunc_end37-_ZN9rocsolver6v33100L16mfma_gemm_kernelI19rocblas_complex_numIfElPKS3_PKPS3_S8_S8_EEv18rocblas_operation_S9_T0_SA_SA_T1_T2_lSA_SA_lT3_lSA_SA_lSB_T4_lSA_SA_l
                                        ; -- End function
	.set _ZN9rocsolver6v33100L16mfma_gemm_kernelI19rocblas_complex_numIfElPKS3_PKPS3_S8_S8_EEv18rocblas_operation_S9_T0_SA_SA_T1_T2_lSA_SA_lT3_lSA_SA_lSB_T4_lSA_SA_l.num_vgpr, 0
	.set _ZN9rocsolver6v33100L16mfma_gemm_kernelI19rocblas_complex_numIfElPKS3_PKPS3_S8_S8_EEv18rocblas_operation_S9_T0_SA_SA_T1_T2_lSA_SA_lT3_lSA_SA_lSB_T4_lSA_SA_l.num_agpr, 0
	.set _ZN9rocsolver6v33100L16mfma_gemm_kernelI19rocblas_complex_numIfElPKS3_PKPS3_S8_S8_EEv18rocblas_operation_S9_T0_SA_SA_T1_T2_lSA_SA_lT3_lSA_SA_lSB_T4_lSA_SA_l.numbered_sgpr, 0
	.set _ZN9rocsolver6v33100L16mfma_gemm_kernelI19rocblas_complex_numIfElPKS3_PKPS3_S8_S8_EEv18rocblas_operation_S9_T0_SA_SA_T1_T2_lSA_SA_lT3_lSA_SA_lSB_T4_lSA_SA_l.num_named_barrier, 0
	.set _ZN9rocsolver6v33100L16mfma_gemm_kernelI19rocblas_complex_numIfElPKS3_PKPS3_S8_S8_EEv18rocblas_operation_S9_T0_SA_SA_T1_T2_lSA_SA_lT3_lSA_SA_lSB_T4_lSA_SA_l.private_seg_size, 0
	.set _ZN9rocsolver6v33100L16mfma_gemm_kernelI19rocblas_complex_numIfElPKS3_PKPS3_S8_S8_EEv18rocblas_operation_S9_T0_SA_SA_T1_T2_lSA_SA_lT3_lSA_SA_lSB_T4_lSA_SA_l.uses_vcc, 0
	.set _ZN9rocsolver6v33100L16mfma_gemm_kernelI19rocblas_complex_numIfElPKS3_PKPS3_S8_S8_EEv18rocblas_operation_S9_T0_SA_SA_T1_T2_lSA_SA_lT3_lSA_SA_lSB_T4_lSA_SA_l.uses_flat_scratch, 0
	.set _ZN9rocsolver6v33100L16mfma_gemm_kernelI19rocblas_complex_numIfElPKS3_PKPS3_S8_S8_EEv18rocblas_operation_S9_T0_SA_SA_T1_T2_lSA_SA_lT3_lSA_SA_lSB_T4_lSA_SA_l.has_dyn_sized_stack, 0
	.set _ZN9rocsolver6v33100L16mfma_gemm_kernelI19rocblas_complex_numIfElPKS3_PKPS3_S8_S8_EEv18rocblas_operation_S9_T0_SA_SA_T1_T2_lSA_SA_lT3_lSA_SA_lSB_T4_lSA_SA_l.has_recursion, 0
	.set _ZN9rocsolver6v33100L16mfma_gemm_kernelI19rocblas_complex_numIfElPKS3_PKPS3_S8_S8_EEv18rocblas_operation_S9_T0_SA_SA_T1_T2_lSA_SA_lT3_lSA_SA_lSB_T4_lSA_SA_l.has_indirect_call, 0
	.section	.AMDGPU.csdata,"",@progbits
; Kernel info:
; codeLenInByte = 4
; TotalNumSgprs: 0
; NumVgprs: 0
; ScratchSize: 0
; MemoryBound: 0
; FloatMode: 240
; IeeeMode: 1
; LDSByteSize: 0 bytes/workgroup (compile time only)
; SGPRBlocks: 0
; VGPRBlocks: 0
; NumSGPRsForWavesPerEU: 1
; NumVGPRsForWavesPerEU: 1
; NamedBarCnt: 0
; Occupancy: 16
; WaveLimiterHint : 0
; COMPUTE_PGM_RSRC2:SCRATCH_EN: 0
; COMPUTE_PGM_RSRC2:USER_SGPR: 2
; COMPUTE_PGM_RSRC2:TRAP_HANDLER: 0
; COMPUTE_PGM_RSRC2:TGID_X_EN: 1
; COMPUTE_PGM_RSRC2:TGID_Y_EN: 0
; COMPUTE_PGM_RSRC2:TGID_Z_EN: 0
; COMPUTE_PGM_RSRC2:TIDIG_COMP_CNT: 0
	.section	.text._ZN9rocsolver6v33100L16mfma_gemm_kernelI19rocblas_complex_numIfElS3_PKPS3_S6_S6_EEv18rocblas_operation_S7_T0_S8_S8_T1_T2_lS8_S8_lT3_lS8_S8_lS9_T4_lS8_S8_l,"axG",@progbits,_ZN9rocsolver6v33100L16mfma_gemm_kernelI19rocblas_complex_numIfElS3_PKPS3_S6_S6_EEv18rocblas_operation_S7_T0_S8_S8_T1_T2_lS8_S8_lT3_lS8_S8_lS9_T4_lS8_S8_l,comdat
	.globl	_ZN9rocsolver6v33100L16mfma_gemm_kernelI19rocblas_complex_numIfElS3_PKPS3_S6_S6_EEv18rocblas_operation_S7_T0_S8_S8_T1_T2_lS8_S8_lT3_lS8_S8_lS9_T4_lS8_S8_l ; -- Begin function _ZN9rocsolver6v33100L16mfma_gemm_kernelI19rocblas_complex_numIfElS3_PKPS3_S6_S6_EEv18rocblas_operation_S7_T0_S8_S8_T1_T2_lS8_S8_lT3_lS8_S8_lS9_T4_lS8_S8_l
	.p2align	8
	.type	_ZN9rocsolver6v33100L16mfma_gemm_kernelI19rocblas_complex_numIfElS3_PKPS3_S6_S6_EEv18rocblas_operation_S7_T0_S8_S8_T1_T2_lS8_S8_lT3_lS8_S8_lS9_T4_lS8_S8_l,@function
_ZN9rocsolver6v33100L16mfma_gemm_kernelI19rocblas_complex_numIfElS3_PKPS3_S6_S6_EEv18rocblas_operation_S7_T0_S8_S8_T1_T2_lS8_S8_lT3_lS8_S8_lS9_T4_lS8_S8_l: ; @_ZN9rocsolver6v33100L16mfma_gemm_kernelI19rocblas_complex_numIfElS3_PKPS3_S6_S6_EEv18rocblas_operation_S7_T0_S8_S8_T1_T2_lS8_S8_lT3_lS8_S8_lS9_T4_lS8_S8_l
; %bb.0:
	s_endpgm
	.section	.rodata,"a",@progbits
	.p2align	6, 0x0
	.amdhsa_kernel _ZN9rocsolver6v33100L16mfma_gemm_kernelI19rocblas_complex_numIfElS3_PKPS3_S6_S6_EEv18rocblas_operation_S7_T0_S8_S8_T1_T2_lS8_S8_lT3_lS8_S8_lS9_T4_lS8_S8_l
		.amdhsa_group_segment_fixed_size 0
		.amdhsa_private_segment_fixed_size 0
		.amdhsa_kernarg_size 168
		.amdhsa_user_sgpr_count 2
		.amdhsa_user_sgpr_dispatch_ptr 0
		.amdhsa_user_sgpr_queue_ptr 0
		.amdhsa_user_sgpr_kernarg_segment_ptr 1
		.amdhsa_user_sgpr_dispatch_id 0
		.amdhsa_user_sgpr_kernarg_preload_length 0
		.amdhsa_user_sgpr_kernarg_preload_offset 0
		.amdhsa_user_sgpr_private_segment_size 0
		.amdhsa_wavefront_size32 1
		.amdhsa_uses_dynamic_stack 0
		.amdhsa_enable_private_segment 0
		.amdhsa_system_sgpr_workgroup_id_x 1
		.amdhsa_system_sgpr_workgroup_id_y 0
		.amdhsa_system_sgpr_workgroup_id_z 0
		.amdhsa_system_sgpr_workgroup_info 0
		.amdhsa_system_vgpr_workitem_id 0
		.amdhsa_next_free_vgpr 1
		.amdhsa_next_free_sgpr 1
		.amdhsa_named_barrier_count 0
		.amdhsa_reserve_vcc 0
		.amdhsa_float_round_mode_32 0
		.amdhsa_float_round_mode_16_64 0
		.amdhsa_float_denorm_mode_32 3
		.amdhsa_float_denorm_mode_16_64 3
		.amdhsa_fp16_overflow 0
		.amdhsa_memory_ordered 1
		.amdhsa_forward_progress 1
		.amdhsa_inst_pref_size 1
		.amdhsa_round_robin_scheduling 0
		.amdhsa_exception_fp_ieee_invalid_op 0
		.amdhsa_exception_fp_denorm_src 0
		.amdhsa_exception_fp_ieee_div_zero 0
		.amdhsa_exception_fp_ieee_overflow 0
		.amdhsa_exception_fp_ieee_underflow 0
		.amdhsa_exception_fp_ieee_inexact 0
		.amdhsa_exception_int_div_zero 0
	.end_amdhsa_kernel
	.section	.text._ZN9rocsolver6v33100L16mfma_gemm_kernelI19rocblas_complex_numIfElS3_PKPS3_S6_S6_EEv18rocblas_operation_S7_T0_S8_S8_T1_T2_lS8_S8_lT3_lS8_S8_lS9_T4_lS8_S8_l,"axG",@progbits,_ZN9rocsolver6v33100L16mfma_gemm_kernelI19rocblas_complex_numIfElS3_PKPS3_S6_S6_EEv18rocblas_operation_S7_T0_S8_S8_T1_T2_lS8_S8_lT3_lS8_S8_lS9_T4_lS8_S8_l,comdat
.Lfunc_end38:
	.size	_ZN9rocsolver6v33100L16mfma_gemm_kernelI19rocblas_complex_numIfElS3_PKPS3_S6_S6_EEv18rocblas_operation_S7_T0_S8_S8_T1_T2_lS8_S8_lT3_lS8_S8_lS9_T4_lS8_S8_l, .Lfunc_end38-_ZN9rocsolver6v33100L16mfma_gemm_kernelI19rocblas_complex_numIfElS3_PKPS3_S6_S6_EEv18rocblas_operation_S7_T0_S8_S8_T1_T2_lS8_S8_lT3_lS8_S8_lS9_T4_lS8_S8_l
                                        ; -- End function
	.set _ZN9rocsolver6v33100L16mfma_gemm_kernelI19rocblas_complex_numIfElS3_PKPS3_S6_S6_EEv18rocblas_operation_S7_T0_S8_S8_T1_T2_lS8_S8_lT3_lS8_S8_lS9_T4_lS8_S8_l.num_vgpr, 0
	.set _ZN9rocsolver6v33100L16mfma_gemm_kernelI19rocblas_complex_numIfElS3_PKPS3_S6_S6_EEv18rocblas_operation_S7_T0_S8_S8_T1_T2_lS8_S8_lT3_lS8_S8_lS9_T4_lS8_S8_l.num_agpr, 0
	.set _ZN9rocsolver6v33100L16mfma_gemm_kernelI19rocblas_complex_numIfElS3_PKPS3_S6_S6_EEv18rocblas_operation_S7_T0_S8_S8_T1_T2_lS8_S8_lT3_lS8_S8_lS9_T4_lS8_S8_l.numbered_sgpr, 0
	.set _ZN9rocsolver6v33100L16mfma_gemm_kernelI19rocblas_complex_numIfElS3_PKPS3_S6_S6_EEv18rocblas_operation_S7_T0_S8_S8_T1_T2_lS8_S8_lT3_lS8_S8_lS9_T4_lS8_S8_l.num_named_barrier, 0
	.set _ZN9rocsolver6v33100L16mfma_gemm_kernelI19rocblas_complex_numIfElS3_PKPS3_S6_S6_EEv18rocblas_operation_S7_T0_S8_S8_T1_T2_lS8_S8_lT3_lS8_S8_lS9_T4_lS8_S8_l.private_seg_size, 0
	.set _ZN9rocsolver6v33100L16mfma_gemm_kernelI19rocblas_complex_numIfElS3_PKPS3_S6_S6_EEv18rocblas_operation_S7_T0_S8_S8_T1_T2_lS8_S8_lT3_lS8_S8_lS9_T4_lS8_S8_l.uses_vcc, 0
	.set _ZN9rocsolver6v33100L16mfma_gemm_kernelI19rocblas_complex_numIfElS3_PKPS3_S6_S6_EEv18rocblas_operation_S7_T0_S8_S8_T1_T2_lS8_S8_lT3_lS8_S8_lS9_T4_lS8_S8_l.uses_flat_scratch, 0
	.set _ZN9rocsolver6v33100L16mfma_gemm_kernelI19rocblas_complex_numIfElS3_PKPS3_S6_S6_EEv18rocblas_operation_S7_T0_S8_S8_T1_T2_lS8_S8_lT3_lS8_S8_lS9_T4_lS8_S8_l.has_dyn_sized_stack, 0
	.set _ZN9rocsolver6v33100L16mfma_gemm_kernelI19rocblas_complex_numIfElS3_PKPS3_S6_S6_EEv18rocblas_operation_S7_T0_S8_S8_T1_T2_lS8_S8_lT3_lS8_S8_lS9_T4_lS8_S8_l.has_recursion, 0
	.set _ZN9rocsolver6v33100L16mfma_gemm_kernelI19rocblas_complex_numIfElS3_PKPS3_S6_S6_EEv18rocblas_operation_S7_T0_S8_S8_T1_T2_lS8_S8_lT3_lS8_S8_lS9_T4_lS8_S8_l.has_indirect_call, 0
	.section	.AMDGPU.csdata,"",@progbits
; Kernel info:
; codeLenInByte = 4
; TotalNumSgprs: 0
; NumVgprs: 0
; ScratchSize: 0
; MemoryBound: 0
; FloatMode: 240
; IeeeMode: 1
; LDSByteSize: 0 bytes/workgroup (compile time only)
; SGPRBlocks: 0
; VGPRBlocks: 0
; NumSGPRsForWavesPerEU: 1
; NumVGPRsForWavesPerEU: 1
; NamedBarCnt: 0
; Occupancy: 16
; WaveLimiterHint : 0
; COMPUTE_PGM_RSRC2:SCRATCH_EN: 0
; COMPUTE_PGM_RSRC2:USER_SGPR: 2
; COMPUTE_PGM_RSRC2:TRAP_HANDLER: 0
; COMPUTE_PGM_RSRC2:TGID_X_EN: 1
; COMPUTE_PGM_RSRC2:TGID_Y_EN: 0
; COMPUTE_PGM_RSRC2:TGID_Z_EN: 0
; COMPUTE_PGM_RSRC2:TIDIG_COMP_CNT: 0
	.section	.text._ZN9rocsolver6v33100L11gemm_kernelI19rocblas_complex_numIfElPKS3_PKPS3_S8_S8_EEvT0_S9_S9_T1_bT2_lS9_S9_lbT3_lS9_S9_lSA_T4_lS9_S9_l,"axG",@progbits,_ZN9rocsolver6v33100L11gemm_kernelI19rocblas_complex_numIfElPKS3_PKPS3_S8_S8_EEvT0_S9_S9_T1_bT2_lS9_S9_lbT3_lS9_S9_lSA_T4_lS9_S9_l,comdat
	.globl	_ZN9rocsolver6v33100L11gemm_kernelI19rocblas_complex_numIfElPKS3_PKPS3_S8_S8_EEvT0_S9_S9_T1_bT2_lS9_S9_lbT3_lS9_S9_lSA_T4_lS9_S9_l ; -- Begin function _ZN9rocsolver6v33100L11gemm_kernelI19rocblas_complex_numIfElPKS3_PKPS3_S8_S8_EEvT0_S9_S9_T1_bT2_lS9_S9_lbT3_lS9_S9_lSA_T4_lS9_S9_l
	.p2align	8
	.type	_ZN9rocsolver6v33100L11gemm_kernelI19rocblas_complex_numIfElPKS3_PKPS3_S8_S8_EEvT0_S9_S9_T1_bT2_lS9_S9_lbT3_lS9_S9_lSA_T4_lS9_S9_l,@function
_ZN9rocsolver6v33100L11gemm_kernelI19rocblas_complex_numIfElPKS3_PKPS3_S8_S8_EEvT0_S9_S9_T1_bT2_lS9_S9_lbT3_lS9_S9_lSA_T4_lS9_S9_l: ; @_ZN9rocsolver6v33100L11gemm_kernelI19rocblas_complex_numIfElPKS3_PKPS3_S8_S8_EEvT0_S9_S9_T1_bT2_lS9_S9_lbT3_lS9_S9_lSA_T4_lS9_S9_l
; %bb.0:
	s_load_b32 s2, s[0:1], 0xbc
	s_bfe_u32 s12, ttmp6, 0x40010
	s_bfe_u32 s15, ttmp6, 0x4000c
	s_and_b32 s3, ttmp7, 0xffff
	s_add_co_i32 s12, s12, 1
	s_add_co_i32 s15, s15, 1
	s_bfe_u32 s13, ttmp6, 0x40004
	s_and_b32 s14, ttmp6, 15
	s_mul_i32 s12, s3, s12
	s_mul_i32 s15, ttmp9, s15
	s_getreg_b32 s20, hwreg(HW_REG_IB_STS2, 6, 4)
	v_mov_b32_e32 v5, 0
	v_and_b32_e32 v4, 0x3ff, v0
	s_add_co_i32 s13, s13, s12
	s_add_co_i32 s14, s14, s15
	s_load_b256 s[4:11], s[0:1], 0x0
	s_wait_kmcnt 0x0
	s_lshr_b32 s12, s2, 16
	s_and_b32 s2, s2, 0xffff
	s_cmp_eq_u32 s20, 0
	s_cselect_b32 s14, ttmp9, s14
	s_delay_alu instid0(SALU_CYCLE_1)
	v_mad_nc_u64_u32 v[2:3], s2, s14, v[4:5]
	v_bfe_u32 v4, v0, 10, 10
	s_cselect_b32 s2, s3, s13
	s_delay_alu instid0(VALU_DEP_1) | instid1(SALU_CYCLE_1)
	v_mad_nc_u64_u32 v[0:1], s12, s2, v[4:5]
	s_delay_alu instid0(VALU_DEP_3) | instskip(NEXT) | instid1(VALU_DEP_2)
	v_cmp_gt_i64_e32 vcc_lo, s[4:5], v[2:3]
	v_cmp_gt_i64_e64 s2, s[6:7], v[0:1]
	s_and_b32 s2, vcc_lo, s2
	s_delay_alu instid0(SALU_CYCLE_1)
	s_and_saveexec_b32 s3, s2
	s_cbranch_execz .LBB39_9
; %bb.1:
	s_clause 0x1
	s_load_b256 s[12:19], s[0:1], 0x80
	s_load_b64 s[2:3], s[0:1], 0xa0
	s_load_b64 s[6:7], s[10:11], 0x0
	s_wait_xcnt 0x0
	s_bfe_u32 s10, ttmp6, 0x40014
	s_lshr_b32 s11, ttmp7, 16
	s_add_co_i32 s10, s10, 1
	v_mov_b32_e32 v4, 0
	s_mul_i32 s10, s11, s10
	s_wait_kmcnt 0x0
	s_load_b64 s[4:5], s[12:13], 0x0
	s_wait_xcnt 0x0
	v_cmp_lt_i64_e64 s13, s[8:9], 1
	s_bfe_u32 s12, ttmp6, 0x40008
	s_delay_alu instid0(SALU_CYCLE_1)
	s_add_co_i32 s12, s12, s10
	s_cmp_eq_u32 s20, 0
	s_cselect_b32 s12, s11, s12
	s_and_b32 vcc_lo, exec_lo, s13
	s_cbranch_vccnz .LBB39_8
; %bb.2:
	s_clause 0x2
	s_load_b256 s[20:27], s[0:1], 0x28
	s_load_b256 s[36:43], s[0:1], 0x58
	s_load_b32 s13, s[0:1], 0x20
	s_wait_kmcnt 0x0
	v_mul_u64_e32 v[4:5], s[24:25], v[2:3]
	v_mul_u64_e32 v[6:7], s[42:43], v[0:1]
	s_load_b32 s28, s[0:1], 0x50
	s_load_b64 s[10:11], s[20:21], s12 offset:0x0 scale_offset
	s_load_b64 s[24:25], s[36:37], s12 offset:0x0 scale_offset
	s_bitcmp1_b32 s13, 0
	s_wait_xcnt 0x0
	s_cselect_b32 s0, -1, 0
	s_delay_alu instid0(SALU_CYCLE_1)
	s_xor_b32 s13, s0, -1
	s_wait_kmcnt 0x0
	s_bitcmp1_b32 s28, 0
	s_cselect_b32 s20, -1, 0
	s_lshl_b64 s[0:1], s[22:23], 3
	s_lshl_b64 s[22:23], s[38:39], 3
	s_add_nc_u64 s[0:1], s[10:11], s[0:1]
	s_add_nc_u64 s[10:11], s[24:25], s[22:23]
	s_delay_alu instid0(VALU_DEP_2) | instskip(NEXT) | instid1(VALU_DEP_2)
	v_lshl_add_u64 v[4:5], v[4:5], 3, s[0:1]
	v_lshl_add_u64 v[8:9], v[6:7], 3, s[10:11]
	s_lshl_b64 s[0:1], s[26:27], 3
	s_lshl_b64 s[10:11], s[40:41], 3
	s_delay_alu instid0(VALU_DEP_2) | instskip(NEXT) | instid1(VALU_DEP_2)
	v_add_nc_u64_e32 v[6:7], 4, v[4:5]
	v_add_nc_u64_e32 v[8:9], 4, v[8:9]
	v_dual_mov_b32 v5, 0 :: v_dual_mov_b32 v4, 0
	s_branch .LBB39_4
.LBB39_3:                               ;   in Loop: Header=BB39_4 Depth=1
	flat_load_b64 v[12:13], v[8:9] offset:-4
	s_wait_xcnt 0x1
	v_add_nc_u64_e32 v[6:7], s[0:1], v[6:7]
	s_wait_xcnt 0x0
	v_add_nc_u64_e32 v[8:9], s[10:11], v[8:9]
	s_add_nc_u64 s[8:9], s[8:9], -1
	s_delay_alu instid0(SALU_CYCLE_1) | instskip(SKIP_2) | instid1(VALU_DEP_1)
	s_cmp_eq_u64 s[8:9], 0
	s_wait_loadcnt_dscnt 0x0
	v_dual_cndmask_b32 v13, v13, -v13, s20 :: v_dual_mul_f32 v14, v11, v12
	v_dual_mul_f32 v11, v11, v13 :: v_dual_fmac_f32 v14, v13, v10
	s_delay_alu instid0(VALU_DEP_1) | instskip(NEXT) | instid1(VALU_DEP_2)
	v_fma_f32 v10, v12, v10, -v11
	v_add_f32_e32 v5, v5, v14
	s_delay_alu instid0(VALU_DEP_2)
	v_add_f32_e32 v4, v4, v10
	s_cbranch_scc1 .LBB39_8
.LBB39_4:                               ; =>This Inner Loop Header: Depth=1
	s_and_b32 vcc_lo, exec_lo, s13
	s_mov_b32 s21, -1
                                        ; implicit-def: $vgpr11
	s_cbranch_vccz .LBB39_6
; %bb.5:                                ;   in Loop: Header=BB39_4 Depth=1
	flat_load_b64 v[10:11], v[6:7] offset:-4
	s_mov_b32 s21, 0
.LBB39_6:                               ;   in Loop: Header=BB39_4 Depth=1
	s_delay_alu instid0(SALU_CYCLE_1)
	s_and_not1_b32 vcc_lo, exec_lo, s21
	s_cbranch_vccnz .LBB39_3
; %bb.7:                                ;   in Loop: Header=BB39_4 Depth=1
	s_wait_loadcnt_dscnt 0x0
	flat_load_b64 v[10:11], v[6:7] offset:-4
	s_wait_loadcnt_dscnt 0x0
	v_xor_b32_e32 v11, 0x80000000, v11
	s_branch .LBB39_3
.LBB39_8:
	v_mul_u64_e32 v[2:3], s[18:19], v[2:3]
	v_mul_u64_e32 v[0:1], s[2:3], v[0:1]
	s_load_b64 s[0:1], s[14:15], s12 offset:0x0 scale_offset
	s_lshl_b64 s[2:3], s[16:17], 3
	v_mov_b64_e32 v[8:9], s[6:7]
	s_wait_kmcnt 0x0
	v_mov_b64_e32 v[10:11], s[4:5]
	v_mov_b32_e32 v6, v5
	s_delay_alu instid0(VALU_DEP_1) | instskip(NEXT) | instid1(VALU_DEP_1)
	v_pk_mul_f32 v[6:7], v[8:9], v[6:7] op_sel:[1,0] op_sel_hi:[0,0]
	v_pk_fma_f32 v[14:15], v[8:9], v[4:5], v[6:7] op_sel_hi:[1,0,1]
	v_pk_fma_f32 v[4:5], v[8:9], v[4:5], v[6:7] neg_lo:[0,0,1] neg_hi:[0,0,1]
	s_delay_alu instid0(VALU_DEP_2) | instskip(SKIP_1) | instid1(SALU_CYCLE_1)
	v_mov_b32_e32 v5, v15
	s_add_nc_u64 s[0:1], s[0:1], s[2:3]
	v_lshl_add_u64 v[2:3], v[2:3], 3, s[0:1]
	s_delay_alu instid0(VALU_DEP_1) | instskip(SKIP_3) | instid1(VALU_DEP_1)
	v_lshl_add_u64 v[0:1], v[0:1], 3, v[2:3]
	flat_load_b64 v[2:3], v[0:1]
	s_wait_loadcnt_dscnt 0x0
	v_pk_mul_f32 v[12:13], v[10:11], v[2:3] op_sel:[1,1] op_sel_hi:[0,1]
	v_pk_fma_f32 v[16:17], v[10:11], v[2:3], v[12:13] op_sel_hi:[1,0,1]
	v_pk_fma_f32 v[2:3], v[10:11], v[2:3], v[12:13] neg_lo:[0,0,1] neg_hi:[0,0,1]
	s_delay_alu instid0(VALU_DEP_2) | instskip(NEXT) | instid1(VALU_DEP_1)
	v_mov_b32_e32 v3, v17
	v_pk_add_f32 v[2:3], v[4:5], v[2:3]
	flat_store_b64 v[0:1], v[2:3]
.LBB39_9:
	s_endpgm
	.section	.rodata,"a",@progbits
	.p2align	6, 0x0
	.amdhsa_kernel _ZN9rocsolver6v33100L11gemm_kernelI19rocblas_complex_numIfElPKS3_PKPS3_S8_S8_EEvT0_S9_S9_T1_bT2_lS9_S9_lbT3_lS9_S9_lSA_T4_lS9_S9_l
		.amdhsa_group_segment_fixed_size 0
		.amdhsa_private_segment_fixed_size 0
		.amdhsa_kernarg_size 432
		.amdhsa_user_sgpr_count 2
		.amdhsa_user_sgpr_dispatch_ptr 0
		.amdhsa_user_sgpr_queue_ptr 0
		.amdhsa_user_sgpr_kernarg_segment_ptr 1
		.amdhsa_user_sgpr_dispatch_id 0
		.amdhsa_user_sgpr_kernarg_preload_length 0
		.amdhsa_user_sgpr_kernarg_preload_offset 0
		.amdhsa_user_sgpr_private_segment_size 0
		.amdhsa_wavefront_size32 1
		.amdhsa_uses_dynamic_stack 0
		.amdhsa_enable_private_segment 0
		.amdhsa_system_sgpr_workgroup_id_x 1
		.amdhsa_system_sgpr_workgroup_id_y 1
		.amdhsa_system_sgpr_workgroup_id_z 1
		.amdhsa_system_sgpr_workgroup_info 0
		.amdhsa_system_vgpr_workitem_id 1
		.amdhsa_next_free_vgpr 18
		.amdhsa_next_free_sgpr 44
		.amdhsa_named_barrier_count 0
		.amdhsa_reserve_vcc 1
		.amdhsa_float_round_mode_32 0
		.amdhsa_float_round_mode_16_64 0
		.amdhsa_float_denorm_mode_32 3
		.amdhsa_float_denorm_mode_16_64 3
		.amdhsa_fp16_overflow 0
		.amdhsa_memory_ordered 1
		.amdhsa_forward_progress 1
		.amdhsa_inst_pref_size 7
		.amdhsa_round_robin_scheduling 0
		.amdhsa_exception_fp_ieee_invalid_op 0
		.amdhsa_exception_fp_denorm_src 0
		.amdhsa_exception_fp_ieee_div_zero 0
		.amdhsa_exception_fp_ieee_overflow 0
		.amdhsa_exception_fp_ieee_underflow 0
		.amdhsa_exception_fp_ieee_inexact 0
		.amdhsa_exception_int_div_zero 0
	.end_amdhsa_kernel
	.section	.text._ZN9rocsolver6v33100L11gemm_kernelI19rocblas_complex_numIfElPKS3_PKPS3_S8_S8_EEvT0_S9_S9_T1_bT2_lS9_S9_lbT3_lS9_S9_lSA_T4_lS9_S9_l,"axG",@progbits,_ZN9rocsolver6v33100L11gemm_kernelI19rocblas_complex_numIfElPKS3_PKPS3_S8_S8_EEvT0_S9_S9_T1_bT2_lS9_S9_lbT3_lS9_S9_lSA_T4_lS9_S9_l,comdat
.Lfunc_end39:
	.size	_ZN9rocsolver6v33100L11gemm_kernelI19rocblas_complex_numIfElPKS3_PKPS3_S8_S8_EEvT0_S9_S9_T1_bT2_lS9_S9_lbT3_lS9_S9_lSA_T4_lS9_S9_l, .Lfunc_end39-_ZN9rocsolver6v33100L11gemm_kernelI19rocblas_complex_numIfElPKS3_PKPS3_S8_S8_EEvT0_S9_S9_T1_bT2_lS9_S9_lbT3_lS9_S9_lSA_T4_lS9_S9_l
                                        ; -- End function
	.set _ZN9rocsolver6v33100L11gemm_kernelI19rocblas_complex_numIfElPKS3_PKPS3_S8_S8_EEvT0_S9_S9_T1_bT2_lS9_S9_lbT3_lS9_S9_lSA_T4_lS9_S9_l.num_vgpr, 18
	.set _ZN9rocsolver6v33100L11gemm_kernelI19rocblas_complex_numIfElPKS3_PKPS3_S8_S8_EEvT0_S9_S9_T1_bT2_lS9_S9_lbT3_lS9_S9_lSA_T4_lS9_S9_l.num_agpr, 0
	.set _ZN9rocsolver6v33100L11gemm_kernelI19rocblas_complex_numIfElPKS3_PKPS3_S8_S8_EEvT0_S9_S9_T1_bT2_lS9_S9_lbT3_lS9_S9_lSA_T4_lS9_S9_l.numbered_sgpr, 44
	.set _ZN9rocsolver6v33100L11gemm_kernelI19rocblas_complex_numIfElPKS3_PKPS3_S8_S8_EEvT0_S9_S9_T1_bT2_lS9_S9_lbT3_lS9_S9_lSA_T4_lS9_S9_l.num_named_barrier, 0
	.set _ZN9rocsolver6v33100L11gemm_kernelI19rocblas_complex_numIfElPKS3_PKPS3_S8_S8_EEvT0_S9_S9_T1_bT2_lS9_S9_lbT3_lS9_S9_lSA_T4_lS9_S9_l.private_seg_size, 0
	.set _ZN9rocsolver6v33100L11gemm_kernelI19rocblas_complex_numIfElPKS3_PKPS3_S8_S8_EEvT0_S9_S9_T1_bT2_lS9_S9_lbT3_lS9_S9_lSA_T4_lS9_S9_l.uses_vcc, 1
	.set _ZN9rocsolver6v33100L11gemm_kernelI19rocblas_complex_numIfElPKS3_PKPS3_S8_S8_EEvT0_S9_S9_T1_bT2_lS9_S9_lbT3_lS9_S9_lSA_T4_lS9_S9_l.uses_flat_scratch, 0
	.set _ZN9rocsolver6v33100L11gemm_kernelI19rocblas_complex_numIfElPKS3_PKPS3_S8_S8_EEvT0_S9_S9_T1_bT2_lS9_S9_lbT3_lS9_S9_lSA_T4_lS9_S9_l.has_dyn_sized_stack, 0
	.set _ZN9rocsolver6v33100L11gemm_kernelI19rocblas_complex_numIfElPKS3_PKPS3_S8_S8_EEvT0_S9_S9_T1_bT2_lS9_S9_lbT3_lS9_S9_lSA_T4_lS9_S9_l.has_recursion, 0
	.set _ZN9rocsolver6v33100L11gemm_kernelI19rocblas_complex_numIfElPKS3_PKPS3_S8_S8_EEvT0_S9_S9_T1_bT2_lS9_S9_lbT3_lS9_S9_lSA_T4_lS9_S9_l.has_indirect_call, 0
	.section	.AMDGPU.csdata,"",@progbits
; Kernel info:
; codeLenInByte = 792
; TotalNumSgprs: 46
; NumVgprs: 18
; ScratchSize: 0
; MemoryBound: 0
; FloatMode: 240
; IeeeMode: 1
; LDSByteSize: 0 bytes/workgroup (compile time only)
; SGPRBlocks: 0
; VGPRBlocks: 1
; NumSGPRsForWavesPerEU: 46
; NumVGPRsForWavesPerEU: 18
; NamedBarCnt: 0
; Occupancy: 16
; WaveLimiterHint : 1
; COMPUTE_PGM_RSRC2:SCRATCH_EN: 0
; COMPUTE_PGM_RSRC2:USER_SGPR: 2
; COMPUTE_PGM_RSRC2:TRAP_HANDLER: 0
; COMPUTE_PGM_RSRC2:TGID_X_EN: 1
; COMPUTE_PGM_RSRC2:TGID_Y_EN: 1
; COMPUTE_PGM_RSRC2:TGID_Z_EN: 1
; COMPUTE_PGM_RSRC2:TIDIG_COMP_CNT: 1
	.section	.text._ZN9rocsolver6v33100L11gemm_kernelI19rocblas_complex_numIfElS3_PKPS3_S6_S6_EEvT0_S7_S7_T1_bT2_lS7_S7_lbT3_lS7_S7_lS8_T4_lS7_S7_l,"axG",@progbits,_ZN9rocsolver6v33100L11gemm_kernelI19rocblas_complex_numIfElS3_PKPS3_S6_S6_EEvT0_S7_S7_T1_bT2_lS7_S7_lbT3_lS7_S7_lS8_T4_lS7_S7_l,comdat
	.globl	_ZN9rocsolver6v33100L11gemm_kernelI19rocblas_complex_numIfElS3_PKPS3_S6_S6_EEvT0_S7_S7_T1_bT2_lS7_S7_lbT3_lS7_S7_lS8_T4_lS7_S7_l ; -- Begin function _ZN9rocsolver6v33100L11gemm_kernelI19rocblas_complex_numIfElS3_PKPS3_S6_S6_EEvT0_S7_S7_T1_bT2_lS7_S7_lbT3_lS7_S7_lS8_T4_lS7_S7_l
	.p2align	8
	.type	_ZN9rocsolver6v33100L11gemm_kernelI19rocblas_complex_numIfElS3_PKPS3_S6_S6_EEvT0_S7_S7_T1_bT2_lS7_S7_lbT3_lS7_S7_lS8_T4_lS7_S7_l,@function
_ZN9rocsolver6v33100L11gemm_kernelI19rocblas_complex_numIfElS3_PKPS3_S6_S6_EEvT0_S7_S7_T1_bT2_lS7_S7_lbT3_lS7_S7_lS8_T4_lS7_S7_l: ; @_ZN9rocsolver6v33100L11gemm_kernelI19rocblas_complex_numIfElS3_PKPS3_S6_S6_EEvT0_S7_S7_T1_bT2_lS7_S7_lbT3_lS7_S7_lS8_T4_lS7_S7_l
; %bb.0:
	s_clause 0x1
	s_load_b32 s2, s[0:1], 0xbc
	s_load_b128 s[4:7], s[0:1], 0x0
	s_bfe_u32 s8, ttmp6, 0x40010
	s_bfe_u32 s11, ttmp6, 0x4000c
	s_and_b32 s3, ttmp7, 0xffff
	s_add_co_i32 s8, s8, 1
	s_add_co_i32 s11, s11, 1
	s_bfe_u32 s9, ttmp6, 0x40004
	s_and_b32 s10, ttmp6, 15
	s_mul_i32 s8, s3, s8
	s_mul_i32 s11, ttmp9, s11
	s_getreg_b32 s12, hwreg(HW_REG_IB_STS2, 6, 4)
	v_mov_b32_e32 v5, 0
	v_and_b32_e32 v4, 0x3ff, v0
	s_add_co_i32 s9, s9, s8
	s_add_co_i32 s10, s10, s11
	s_wait_kmcnt 0x0
	s_lshr_b32 s8, s2, 16
	s_and_b32 s2, s2, 0xffff
	s_cmp_eq_u32 s12, 0
	s_cselect_b32 s10, ttmp9, s10
	s_delay_alu instid0(SALU_CYCLE_1)
	v_mad_nc_u64_u32 v[2:3], s2, s10, v[4:5]
	v_bfe_u32 v4, v0, 10, 10
	s_cselect_b32 s2, s3, s9
	s_delay_alu instid0(VALU_DEP_1) | instid1(SALU_CYCLE_1)
	v_mad_nc_u64_u32 v[0:1], s8, s2, v[4:5]
	s_delay_alu instid0(VALU_DEP_3) | instskip(NEXT) | instid1(VALU_DEP_2)
	v_cmp_gt_i64_e32 vcc_lo, s[4:5], v[2:3]
	v_cmp_gt_i64_e64 s2, s[6:7], v[0:1]
	s_and_b32 s2, vcc_lo, s2
	s_delay_alu instid0(SALU_CYCLE_1)
	s_and_saveexec_b32 s3, s2
	s_cbranch_execz .LBB40_9
; %bb.1:
	s_clause 0x3
	s_load_b64 s[34:35], s[0:1], 0x10
	s_load_b96 s[28:30], s[0:1], 0x18
	s_load_b256 s[4:11], s[0:1], 0x88
	s_load_b64 s[2:3], s[0:1], 0x80
	s_bfe_u32 s14, ttmp6, 0x40014
	s_lshr_b32 s13, ttmp7, 16
	s_add_co_i32 s14, s14, 1
	s_bfe_u32 s15, ttmp6, 0x40008
	s_mul_i32 s14, s13, s14
	v_mov_b32_e32 v4, 0
	s_add_co_i32 s15, s15, s14
	s_cmp_eq_u32 s12, 0
	s_cselect_b32 s31, s13, s15
	s_wait_kmcnt 0x0
	v_cmp_lt_i64_e64 s16, s[34:35], 1
	s_and_b32 vcc_lo, exec_lo, s16
	s_cbranch_vccnz .LBB40_8
; %bb.2:
	s_clause 0x1
	s_load_b256 s[12:19], s[0:1], 0x28
	s_load_b256 s[20:27], s[0:1], 0x58
	s_bitcmp1_b32 s30, 0
	s_wait_kmcnt 0x0
	v_mul_u64_e32 v[4:5], s[16:17], v[2:3]
	v_mul_u64_e32 v[6:7], s[26:27], v[0:1]
	s_load_b32 s17, s[0:1], 0x50
	s_load_b64 s[26:27], s[12:13], s31 offset:0x0 scale_offset
	s_load_b64 s[36:37], s[20:21], s31 offset:0x0 scale_offset
	s_wait_xcnt 0x0
	s_cselect_b32 s0, -1, 0
	s_delay_alu instid0(SALU_CYCLE_1)
	s_xor_b32 s16, s0, -1
	s_wait_kmcnt 0x0
	s_bitcmp1_b32 s17, 0
	s_cselect_b32 s17, -1, 0
	s_lshl_b64 s[0:1], s[14:15], 3
	s_lshl_b64 s[12:13], s[22:23], 3
	s_add_nc_u64 s[0:1], s[26:27], s[0:1]
	s_add_nc_u64 s[12:13], s[36:37], s[12:13]
	s_delay_alu instid0(VALU_DEP_2) | instskip(NEXT) | instid1(VALU_DEP_2)
	v_lshl_add_u64 v[4:5], v[4:5], 3, s[0:1]
	v_lshl_add_u64 v[8:9], v[6:7], 3, s[12:13]
	s_lshl_b64 s[0:1], s[18:19], 3
	s_lshl_b64 s[12:13], s[24:25], 3
	s_delay_alu instid0(VALU_DEP_2) | instskip(NEXT) | instid1(VALU_DEP_2)
	v_add_nc_u64_e32 v[6:7], 4, v[4:5]
	v_add_nc_u64_e32 v[8:9], 4, v[8:9]
	v_dual_mov_b32 v5, 0 :: v_dual_mov_b32 v4, 0
	s_branch .LBB40_4
.LBB40_3:                               ;   in Loop: Header=BB40_4 Depth=1
	flat_load_b64 v[12:13], v[8:9] offset:-4
	s_wait_xcnt 0x1
	v_add_nc_u64_e32 v[6:7], s[0:1], v[6:7]
	s_wait_xcnt 0x0
	v_add_nc_u64_e32 v[8:9], s[12:13], v[8:9]
	s_add_nc_u64 s[34:35], s[34:35], -1
	s_delay_alu instid0(SALU_CYCLE_1) | instskip(SKIP_2) | instid1(VALU_DEP_1)
	s_cmp_eq_u64 s[34:35], 0
	s_wait_loadcnt_dscnt 0x0
	v_dual_cndmask_b32 v13, v13, -v13, s17 :: v_dual_mul_f32 v14, v11, v12
	v_dual_mul_f32 v11, v11, v13 :: v_dual_fmac_f32 v14, v13, v10
	s_delay_alu instid0(VALU_DEP_1) | instskip(NEXT) | instid1(VALU_DEP_2)
	v_fma_f32 v10, v12, v10, -v11
	v_add_f32_e32 v5, v5, v14
	s_delay_alu instid0(VALU_DEP_2)
	v_add_f32_e32 v4, v4, v10
	s_cbranch_scc1 .LBB40_8
.LBB40_4:                               ; =>This Inner Loop Header: Depth=1
	s_and_b32 vcc_lo, exec_lo, s16
	s_mov_b32 s14, -1
                                        ; implicit-def: $vgpr11
	s_cbranch_vccz .LBB40_6
; %bb.5:                                ;   in Loop: Header=BB40_4 Depth=1
	flat_load_b64 v[10:11], v[6:7] offset:-4
	s_mov_b32 s14, 0
.LBB40_6:                               ;   in Loop: Header=BB40_4 Depth=1
	s_delay_alu instid0(SALU_CYCLE_1)
	s_and_not1_b32 vcc_lo, exec_lo, s14
	s_cbranch_vccnz .LBB40_3
; %bb.7:                                ;   in Loop: Header=BB40_4 Depth=1
	s_wait_loadcnt_dscnt 0x0
	flat_load_b64 v[10:11], v[6:7] offset:-4
	s_wait_loadcnt_dscnt 0x0
	v_xor_b32_e32 v11, 0x80000000, v11
	s_branch .LBB40_3
.LBB40_8:
	v_mul_u64_e32 v[2:3], s[8:9], v[2:3]
	v_mul_u64_e32 v[0:1], s[10:11], v[0:1]
	s_load_b64 s[0:1], s[4:5], s31 offset:0x0 scale_offset
	s_wait_xcnt 0x0
	s_lshl_b64 s[4:5], s[6:7], 3
	v_mov_b64_e32 v[8:9], s[28:29]
	v_mov_b64_e32 v[10:11], s[2:3]
	v_mov_b32_e32 v6, v5
	s_delay_alu instid0(VALU_DEP_1) | instskip(NEXT) | instid1(VALU_DEP_1)
	v_pk_mul_f32 v[6:7], v[8:9], v[6:7] op_sel:[1,0] op_sel_hi:[0,0]
	v_pk_fma_f32 v[14:15], v[8:9], v[4:5], v[6:7] op_sel_hi:[1,0,1]
	v_pk_fma_f32 v[4:5], v[8:9], v[4:5], v[6:7] neg_lo:[0,0,1] neg_hi:[0,0,1]
	s_delay_alu instid0(VALU_DEP_2) | instskip(SKIP_2) | instid1(SALU_CYCLE_1)
	v_mov_b32_e32 v5, v15
	s_wait_kmcnt 0x0
	s_add_nc_u64 s[0:1], s[0:1], s[4:5]
	v_lshl_add_u64 v[2:3], v[2:3], 3, s[0:1]
	s_delay_alu instid0(VALU_DEP_1) | instskip(SKIP_3) | instid1(VALU_DEP_1)
	v_lshl_add_u64 v[0:1], v[0:1], 3, v[2:3]
	flat_load_b64 v[2:3], v[0:1]
	s_wait_loadcnt_dscnt 0x0
	v_pk_mul_f32 v[12:13], v[10:11], v[2:3] op_sel:[1,1] op_sel_hi:[0,1]
	v_pk_fma_f32 v[16:17], v[10:11], v[2:3], v[12:13] op_sel_hi:[1,0,1]
	v_pk_fma_f32 v[2:3], v[10:11], v[2:3], v[12:13] neg_lo:[0,0,1] neg_hi:[0,0,1]
	s_delay_alu instid0(VALU_DEP_2) | instskip(NEXT) | instid1(VALU_DEP_1)
	v_mov_b32_e32 v3, v17
	v_pk_add_f32 v[2:3], v[4:5], v[2:3]
	flat_store_b64 v[0:1], v[2:3]
.LBB40_9:
	s_endpgm
	.section	.rodata,"a",@progbits
	.p2align	6, 0x0
	.amdhsa_kernel _ZN9rocsolver6v33100L11gemm_kernelI19rocblas_complex_numIfElS3_PKPS3_S6_S6_EEvT0_S7_S7_T1_bT2_lS7_S7_lbT3_lS7_S7_lS8_T4_lS7_S7_l
		.amdhsa_group_segment_fixed_size 0
		.amdhsa_private_segment_fixed_size 0
		.amdhsa_kernarg_size 432
		.amdhsa_user_sgpr_count 2
		.amdhsa_user_sgpr_dispatch_ptr 0
		.amdhsa_user_sgpr_queue_ptr 0
		.amdhsa_user_sgpr_kernarg_segment_ptr 1
		.amdhsa_user_sgpr_dispatch_id 0
		.amdhsa_user_sgpr_kernarg_preload_length 0
		.amdhsa_user_sgpr_kernarg_preload_offset 0
		.amdhsa_user_sgpr_private_segment_size 0
		.amdhsa_wavefront_size32 1
		.amdhsa_uses_dynamic_stack 0
		.amdhsa_enable_private_segment 0
		.amdhsa_system_sgpr_workgroup_id_x 1
		.amdhsa_system_sgpr_workgroup_id_y 1
		.amdhsa_system_sgpr_workgroup_id_z 1
		.amdhsa_system_sgpr_workgroup_info 0
		.amdhsa_system_vgpr_workitem_id 1
		.amdhsa_next_free_vgpr 18
		.amdhsa_next_free_sgpr 38
		.amdhsa_named_barrier_count 0
		.amdhsa_reserve_vcc 1
		.amdhsa_float_round_mode_32 0
		.amdhsa_float_round_mode_16_64 0
		.amdhsa_float_denorm_mode_32 3
		.amdhsa_float_denorm_mode_16_64 3
		.amdhsa_fp16_overflow 0
		.amdhsa_memory_ordered 1
		.amdhsa_forward_progress 1
		.amdhsa_inst_pref_size 7
		.amdhsa_round_robin_scheduling 0
		.amdhsa_exception_fp_ieee_invalid_op 0
		.amdhsa_exception_fp_denorm_src 0
		.amdhsa_exception_fp_ieee_div_zero 0
		.amdhsa_exception_fp_ieee_overflow 0
		.amdhsa_exception_fp_ieee_underflow 0
		.amdhsa_exception_fp_ieee_inexact 0
		.amdhsa_exception_int_div_zero 0
	.end_amdhsa_kernel
	.section	.text._ZN9rocsolver6v33100L11gemm_kernelI19rocblas_complex_numIfElS3_PKPS3_S6_S6_EEvT0_S7_S7_T1_bT2_lS7_S7_lbT3_lS7_S7_lS8_T4_lS7_S7_l,"axG",@progbits,_ZN9rocsolver6v33100L11gemm_kernelI19rocblas_complex_numIfElS3_PKPS3_S6_S6_EEvT0_S7_S7_T1_bT2_lS7_S7_lbT3_lS7_S7_lS8_T4_lS7_S7_l,comdat
.Lfunc_end40:
	.size	_ZN9rocsolver6v33100L11gemm_kernelI19rocblas_complex_numIfElS3_PKPS3_S6_S6_EEvT0_S7_S7_T1_bT2_lS7_S7_lbT3_lS7_S7_lS8_T4_lS7_S7_l, .Lfunc_end40-_ZN9rocsolver6v33100L11gemm_kernelI19rocblas_complex_numIfElS3_PKPS3_S6_S6_EEvT0_S7_S7_T1_bT2_lS7_S7_lbT3_lS7_S7_lS8_T4_lS7_S7_l
                                        ; -- End function
	.set _ZN9rocsolver6v33100L11gemm_kernelI19rocblas_complex_numIfElS3_PKPS3_S6_S6_EEvT0_S7_S7_T1_bT2_lS7_S7_lbT3_lS7_S7_lS8_T4_lS7_S7_l.num_vgpr, 18
	.set _ZN9rocsolver6v33100L11gemm_kernelI19rocblas_complex_numIfElS3_PKPS3_S6_S6_EEvT0_S7_S7_T1_bT2_lS7_S7_lbT3_lS7_S7_lS8_T4_lS7_S7_l.num_agpr, 0
	.set _ZN9rocsolver6v33100L11gemm_kernelI19rocblas_complex_numIfElS3_PKPS3_S6_S6_EEvT0_S7_S7_T1_bT2_lS7_S7_lbT3_lS7_S7_lS8_T4_lS7_S7_l.numbered_sgpr, 38
	.set _ZN9rocsolver6v33100L11gemm_kernelI19rocblas_complex_numIfElS3_PKPS3_S6_S6_EEvT0_S7_S7_T1_bT2_lS7_S7_lbT3_lS7_S7_lS8_T4_lS7_S7_l.num_named_barrier, 0
	.set _ZN9rocsolver6v33100L11gemm_kernelI19rocblas_complex_numIfElS3_PKPS3_S6_S6_EEvT0_S7_S7_T1_bT2_lS7_S7_lbT3_lS7_S7_lS8_T4_lS7_S7_l.private_seg_size, 0
	.set _ZN9rocsolver6v33100L11gemm_kernelI19rocblas_complex_numIfElS3_PKPS3_S6_S6_EEvT0_S7_S7_T1_bT2_lS7_S7_lbT3_lS7_S7_lS8_T4_lS7_S7_l.uses_vcc, 1
	.set _ZN9rocsolver6v33100L11gemm_kernelI19rocblas_complex_numIfElS3_PKPS3_S6_S6_EEvT0_S7_S7_T1_bT2_lS7_S7_lbT3_lS7_S7_lS8_T4_lS7_S7_l.uses_flat_scratch, 0
	.set _ZN9rocsolver6v33100L11gemm_kernelI19rocblas_complex_numIfElS3_PKPS3_S6_S6_EEvT0_S7_S7_T1_bT2_lS7_S7_lbT3_lS7_S7_lS8_T4_lS7_S7_l.has_dyn_sized_stack, 0
	.set _ZN9rocsolver6v33100L11gemm_kernelI19rocblas_complex_numIfElS3_PKPS3_S6_S6_EEvT0_S7_S7_T1_bT2_lS7_S7_lbT3_lS7_S7_lS8_T4_lS7_S7_l.has_recursion, 0
	.set _ZN9rocsolver6v33100L11gemm_kernelI19rocblas_complex_numIfElS3_PKPS3_S6_S6_EEvT0_S7_S7_T1_bT2_lS7_S7_lbT3_lS7_S7_lS8_T4_lS7_S7_l.has_indirect_call, 0
	.section	.AMDGPU.csdata,"",@progbits
; Kernel info:
; codeLenInByte = 780
; TotalNumSgprs: 40
; NumVgprs: 18
; ScratchSize: 0
; MemoryBound: 0
; FloatMode: 240
; IeeeMode: 1
; LDSByteSize: 0 bytes/workgroup (compile time only)
; SGPRBlocks: 0
; VGPRBlocks: 1
; NumSGPRsForWavesPerEU: 40
; NumVGPRsForWavesPerEU: 18
; NamedBarCnt: 0
; Occupancy: 16
; WaveLimiterHint : 1
; COMPUTE_PGM_RSRC2:SCRATCH_EN: 0
; COMPUTE_PGM_RSRC2:USER_SGPR: 2
; COMPUTE_PGM_RSRC2:TRAP_HANDLER: 0
; COMPUTE_PGM_RSRC2:TGID_X_EN: 1
; COMPUTE_PGM_RSRC2:TGID_Y_EN: 1
; COMPUTE_PGM_RSRC2:TGID_Z_EN: 1
; COMPUTE_PGM_RSRC2:TIDIG_COMP_CNT: 1
	.section	.text._ZN9rocsolver6v33100L9get_arrayI19rocblas_complex_numIfElEEvPPT_S5_lT0_,"axG",@progbits,_ZN9rocsolver6v33100L9get_arrayI19rocblas_complex_numIfElEEvPPT_S5_lT0_,comdat
	.globl	_ZN9rocsolver6v33100L9get_arrayI19rocblas_complex_numIfElEEvPPT_S5_lT0_ ; -- Begin function _ZN9rocsolver6v33100L9get_arrayI19rocblas_complex_numIfElEEvPPT_S5_lT0_
	.p2align	8
	.type	_ZN9rocsolver6v33100L9get_arrayI19rocblas_complex_numIfElEEvPPT_S5_lT0_,@function
_ZN9rocsolver6v33100L9get_arrayI19rocblas_complex_numIfElEEvPPT_S5_lT0_: ; @_ZN9rocsolver6v33100L9get_arrayI19rocblas_complex_numIfElEEvPPT_S5_lT0_
; %bb.0:
	s_load_b32 s2, s[0:1], 0x2c
	s_bfe_u32 s12, ttmp6, 0x4000c
	s_load_b256 s[4:11], s[0:1], 0x0
	s_add_co_i32 s12, s12, 1
	s_and_b32 s3, ttmp6, 15
	s_wait_xcnt 0x0
	s_mul_i32 s1, ttmp9, s12
	s_getreg_b32 s0, hwreg(HW_REG_IB_STS2, 6, 4)
	v_mov_b32_e32 v1, 0
	s_add_co_i32 s3, s3, s1
	s_wait_kmcnt 0x0
	s_and_b32 s2, s2, 0xffff
	s_cmp_eq_u32 s0, 0
	s_cselect_b32 s0, ttmp9, s3
	s_delay_alu instid0(SALU_CYCLE_1) | instskip(SKIP_1) | instid1(VALU_DEP_1)
	v_mad_nc_u64_u32 v[0:1], s2, s0, v[0:1]
	s_mov_b32 s0, exec_lo
	v_cmpx_gt_i64_e64 s[10:11], v[0:1]
	s_cbranch_execz .LBB41_2
; %bb.1:
	v_mul_u64_e32 v[2:3], s[8:9], v[0:1]
	v_lshl_add_u64 v[0:1], v[0:1], 3, s[4:5]
	s_delay_alu instid0(VALU_DEP_2)
	v_lshl_add_u64 v[2:3], v[2:3], 3, s[6:7]
	global_store_b64 v[0:1], v[2:3], off
.LBB41_2:
	s_endpgm
	.section	.rodata,"a",@progbits
	.p2align	6, 0x0
	.amdhsa_kernel _ZN9rocsolver6v33100L9get_arrayI19rocblas_complex_numIfElEEvPPT_S5_lT0_
		.amdhsa_group_segment_fixed_size 0
		.amdhsa_private_segment_fixed_size 0
		.amdhsa_kernarg_size 288
		.amdhsa_user_sgpr_count 2
		.amdhsa_user_sgpr_dispatch_ptr 0
		.amdhsa_user_sgpr_queue_ptr 0
		.amdhsa_user_sgpr_kernarg_segment_ptr 1
		.amdhsa_user_sgpr_dispatch_id 0
		.amdhsa_user_sgpr_kernarg_preload_length 0
		.amdhsa_user_sgpr_kernarg_preload_offset 0
		.amdhsa_user_sgpr_private_segment_size 0
		.amdhsa_wavefront_size32 1
		.amdhsa_uses_dynamic_stack 0
		.amdhsa_enable_private_segment 0
		.amdhsa_system_sgpr_workgroup_id_x 1
		.amdhsa_system_sgpr_workgroup_id_y 0
		.amdhsa_system_sgpr_workgroup_id_z 0
		.amdhsa_system_sgpr_workgroup_info 0
		.amdhsa_system_vgpr_workitem_id 0
		.amdhsa_next_free_vgpr 4
		.amdhsa_next_free_sgpr 13
		.amdhsa_named_barrier_count 0
		.amdhsa_reserve_vcc 0
		.amdhsa_float_round_mode_32 0
		.amdhsa_float_round_mode_16_64 0
		.amdhsa_float_denorm_mode_32 3
		.amdhsa_float_denorm_mode_16_64 3
		.amdhsa_fp16_overflow 0
		.amdhsa_memory_ordered 1
		.amdhsa_forward_progress 1
		.amdhsa_inst_pref_size 2
		.amdhsa_round_robin_scheduling 0
		.amdhsa_exception_fp_ieee_invalid_op 0
		.amdhsa_exception_fp_denorm_src 0
		.amdhsa_exception_fp_ieee_div_zero 0
		.amdhsa_exception_fp_ieee_overflow 0
		.amdhsa_exception_fp_ieee_underflow 0
		.amdhsa_exception_fp_ieee_inexact 0
		.amdhsa_exception_int_div_zero 0
	.end_amdhsa_kernel
	.section	.text._ZN9rocsolver6v33100L9get_arrayI19rocblas_complex_numIfElEEvPPT_S5_lT0_,"axG",@progbits,_ZN9rocsolver6v33100L9get_arrayI19rocblas_complex_numIfElEEvPPT_S5_lT0_,comdat
.Lfunc_end41:
	.size	_ZN9rocsolver6v33100L9get_arrayI19rocblas_complex_numIfElEEvPPT_S5_lT0_, .Lfunc_end41-_ZN9rocsolver6v33100L9get_arrayI19rocblas_complex_numIfElEEvPPT_S5_lT0_
                                        ; -- End function
	.set _ZN9rocsolver6v33100L9get_arrayI19rocblas_complex_numIfElEEvPPT_S5_lT0_.num_vgpr, 4
	.set _ZN9rocsolver6v33100L9get_arrayI19rocblas_complex_numIfElEEvPPT_S5_lT0_.num_agpr, 0
	.set _ZN9rocsolver6v33100L9get_arrayI19rocblas_complex_numIfElEEvPPT_S5_lT0_.numbered_sgpr, 13
	.set _ZN9rocsolver6v33100L9get_arrayI19rocblas_complex_numIfElEEvPPT_S5_lT0_.num_named_barrier, 0
	.set _ZN9rocsolver6v33100L9get_arrayI19rocblas_complex_numIfElEEvPPT_S5_lT0_.private_seg_size, 0
	.set _ZN9rocsolver6v33100L9get_arrayI19rocblas_complex_numIfElEEvPPT_S5_lT0_.uses_vcc, 0
	.set _ZN9rocsolver6v33100L9get_arrayI19rocblas_complex_numIfElEEvPPT_S5_lT0_.uses_flat_scratch, 0
	.set _ZN9rocsolver6v33100L9get_arrayI19rocblas_complex_numIfElEEvPPT_S5_lT0_.has_dyn_sized_stack, 0
	.set _ZN9rocsolver6v33100L9get_arrayI19rocblas_complex_numIfElEEvPPT_S5_lT0_.has_recursion, 0
	.set _ZN9rocsolver6v33100L9get_arrayI19rocblas_complex_numIfElEEvPPT_S5_lT0_.has_indirect_call, 0
	.section	.AMDGPU.csdata,"",@progbits
; Kernel info:
; codeLenInByte = 140
; TotalNumSgprs: 13
; NumVgprs: 4
; ScratchSize: 0
; MemoryBound: 0
; FloatMode: 240
; IeeeMode: 1
; LDSByteSize: 0 bytes/workgroup (compile time only)
; SGPRBlocks: 0
; VGPRBlocks: 0
; NumSGPRsForWavesPerEU: 13
; NumVGPRsForWavesPerEU: 4
; NamedBarCnt: 0
; Occupancy: 16
; WaveLimiterHint : 0
; COMPUTE_PGM_RSRC2:SCRATCH_EN: 0
; COMPUTE_PGM_RSRC2:USER_SGPR: 2
; COMPUTE_PGM_RSRC2:TRAP_HANDLER: 0
; COMPUTE_PGM_RSRC2:TGID_X_EN: 1
; COMPUTE_PGM_RSRC2:TGID_Y_EN: 0
; COMPUTE_PGM_RSRC2:TGID_Z_EN: 0
; COMPUTE_PGM_RSRC2:TIDIG_COMP_CNT: 0
	.section	.text._ZN9rocsolver6v33100L16mfma_gemm_kernelI19rocblas_complex_numIfElPKS3_PS3_PKS6_S8_EEv18rocblas_operation_S9_T0_SA_SA_T1_T2_lSA_SA_lT3_lSA_SA_lSB_T4_lSA_SA_l,"axG",@progbits,_ZN9rocsolver6v33100L16mfma_gemm_kernelI19rocblas_complex_numIfElPKS3_PS3_PKS6_S8_EEv18rocblas_operation_S9_T0_SA_SA_T1_T2_lSA_SA_lT3_lSA_SA_lSB_T4_lSA_SA_l,comdat
	.globl	_ZN9rocsolver6v33100L16mfma_gemm_kernelI19rocblas_complex_numIfElPKS3_PS3_PKS6_S8_EEv18rocblas_operation_S9_T0_SA_SA_T1_T2_lSA_SA_lT3_lSA_SA_lSB_T4_lSA_SA_l ; -- Begin function _ZN9rocsolver6v33100L16mfma_gemm_kernelI19rocblas_complex_numIfElPKS3_PS3_PKS6_S8_EEv18rocblas_operation_S9_T0_SA_SA_T1_T2_lSA_SA_lT3_lSA_SA_lSB_T4_lSA_SA_l
	.p2align	8
	.type	_ZN9rocsolver6v33100L16mfma_gemm_kernelI19rocblas_complex_numIfElPKS3_PS3_PKS6_S8_EEv18rocblas_operation_S9_T0_SA_SA_T1_T2_lSA_SA_lT3_lSA_SA_lSB_T4_lSA_SA_l,@function
_ZN9rocsolver6v33100L16mfma_gemm_kernelI19rocblas_complex_numIfElPKS3_PS3_PKS6_S8_EEv18rocblas_operation_S9_T0_SA_SA_T1_T2_lSA_SA_lT3_lSA_SA_lSB_T4_lSA_SA_l: ; @_ZN9rocsolver6v33100L16mfma_gemm_kernelI19rocblas_complex_numIfElPKS3_PS3_PKS6_S8_EEv18rocblas_operation_S9_T0_SA_SA_T1_T2_lSA_SA_lT3_lSA_SA_lSB_T4_lSA_SA_l
; %bb.0:
	s_endpgm
	.section	.rodata,"a",@progbits
	.p2align	6, 0x0
	.amdhsa_kernel _ZN9rocsolver6v33100L16mfma_gemm_kernelI19rocblas_complex_numIfElPKS3_PS3_PKS6_S8_EEv18rocblas_operation_S9_T0_SA_SA_T1_T2_lSA_SA_lT3_lSA_SA_lSB_T4_lSA_SA_l
		.amdhsa_group_segment_fixed_size 0
		.amdhsa_private_segment_fixed_size 0
		.amdhsa_kernarg_size 168
		.amdhsa_user_sgpr_count 2
		.amdhsa_user_sgpr_dispatch_ptr 0
		.amdhsa_user_sgpr_queue_ptr 0
		.amdhsa_user_sgpr_kernarg_segment_ptr 1
		.amdhsa_user_sgpr_dispatch_id 0
		.amdhsa_user_sgpr_kernarg_preload_length 0
		.amdhsa_user_sgpr_kernarg_preload_offset 0
		.amdhsa_user_sgpr_private_segment_size 0
		.amdhsa_wavefront_size32 1
		.amdhsa_uses_dynamic_stack 0
		.amdhsa_enable_private_segment 0
		.amdhsa_system_sgpr_workgroup_id_x 1
		.amdhsa_system_sgpr_workgroup_id_y 0
		.amdhsa_system_sgpr_workgroup_id_z 0
		.amdhsa_system_sgpr_workgroup_info 0
		.amdhsa_system_vgpr_workitem_id 0
		.amdhsa_next_free_vgpr 1
		.amdhsa_next_free_sgpr 1
		.amdhsa_named_barrier_count 0
		.amdhsa_reserve_vcc 0
		.amdhsa_float_round_mode_32 0
		.amdhsa_float_round_mode_16_64 0
		.amdhsa_float_denorm_mode_32 3
		.amdhsa_float_denorm_mode_16_64 3
		.amdhsa_fp16_overflow 0
		.amdhsa_memory_ordered 1
		.amdhsa_forward_progress 1
		.amdhsa_inst_pref_size 1
		.amdhsa_round_robin_scheduling 0
		.amdhsa_exception_fp_ieee_invalid_op 0
		.amdhsa_exception_fp_denorm_src 0
		.amdhsa_exception_fp_ieee_div_zero 0
		.amdhsa_exception_fp_ieee_overflow 0
		.amdhsa_exception_fp_ieee_underflow 0
		.amdhsa_exception_fp_ieee_inexact 0
		.amdhsa_exception_int_div_zero 0
	.end_amdhsa_kernel
	.section	.text._ZN9rocsolver6v33100L16mfma_gemm_kernelI19rocblas_complex_numIfElPKS3_PS3_PKS6_S8_EEv18rocblas_operation_S9_T0_SA_SA_T1_T2_lSA_SA_lT3_lSA_SA_lSB_T4_lSA_SA_l,"axG",@progbits,_ZN9rocsolver6v33100L16mfma_gemm_kernelI19rocblas_complex_numIfElPKS3_PS3_PKS6_S8_EEv18rocblas_operation_S9_T0_SA_SA_T1_T2_lSA_SA_lT3_lSA_SA_lSB_T4_lSA_SA_l,comdat
.Lfunc_end42:
	.size	_ZN9rocsolver6v33100L16mfma_gemm_kernelI19rocblas_complex_numIfElPKS3_PS3_PKS6_S8_EEv18rocblas_operation_S9_T0_SA_SA_T1_T2_lSA_SA_lT3_lSA_SA_lSB_T4_lSA_SA_l, .Lfunc_end42-_ZN9rocsolver6v33100L16mfma_gemm_kernelI19rocblas_complex_numIfElPKS3_PS3_PKS6_S8_EEv18rocblas_operation_S9_T0_SA_SA_T1_T2_lSA_SA_lT3_lSA_SA_lSB_T4_lSA_SA_l
                                        ; -- End function
	.set _ZN9rocsolver6v33100L16mfma_gemm_kernelI19rocblas_complex_numIfElPKS3_PS3_PKS6_S8_EEv18rocblas_operation_S9_T0_SA_SA_T1_T2_lSA_SA_lT3_lSA_SA_lSB_T4_lSA_SA_l.num_vgpr, 0
	.set _ZN9rocsolver6v33100L16mfma_gemm_kernelI19rocblas_complex_numIfElPKS3_PS3_PKS6_S8_EEv18rocblas_operation_S9_T0_SA_SA_T1_T2_lSA_SA_lT3_lSA_SA_lSB_T4_lSA_SA_l.num_agpr, 0
	.set _ZN9rocsolver6v33100L16mfma_gemm_kernelI19rocblas_complex_numIfElPKS3_PS3_PKS6_S8_EEv18rocblas_operation_S9_T0_SA_SA_T1_T2_lSA_SA_lT3_lSA_SA_lSB_T4_lSA_SA_l.numbered_sgpr, 0
	.set _ZN9rocsolver6v33100L16mfma_gemm_kernelI19rocblas_complex_numIfElPKS3_PS3_PKS6_S8_EEv18rocblas_operation_S9_T0_SA_SA_T1_T2_lSA_SA_lT3_lSA_SA_lSB_T4_lSA_SA_l.num_named_barrier, 0
	.set _ZN9rocsolver6v33100L16mfma_gemm_kernelI19rocblas_complex_numIfElPKS3_PS3_PKS6_S8_EEv18rocblas_operation_S9_T0_SA_SA_T1_T2_lSA_SA_lT3_lSA_SA_lSB_T4_lSA_SA_l.private_seg_size, 0
	.set _ZN9rocsolver6v33100L16mfma_gemm_kernelI19rocblas_complex_numIfElPKS3_PS3_PKS6_S8_EEv18rocblas_operation_S9_T0_SA_SA_T1_T2_lSA_SA_lT3_lSA_SA_lSB_T4_lSA_SA_l.uses_vcc, 0
	.set _ZN9rocsolver6v33100L16mfma_gemm_kernelI19rocblas_complex_numIfElPKS3_PS3_PKS6_S8_EEv18rocblas_operation_S9_T0_SA_SA_T1_T2_lSA_SA_lT3_lSA_SA_lSB_T4_lSA_SA_l.uses_flat_scratch, 0
	.set _ZN9rocsolver6v33100L16mfma_gemm_kernelI19rocblas_complex_numIfElPKS3_PS3_PKS6_S8_EEv18rocblas_operation_S9_T0_SA_SA_T1_T2_lSA_SA_lT3_lSA_SA_lSB_T4_lSA_SA_l.has_dyn_sized_stack, 0
	.set _ZN9rocsolver6v33100L16mfma_gemm_kernelI19rocblas_complex_numIfElPKS3_PS3_PKS6_S8_EEv18rocblas_operation_S9_T0_SA_SA_T1_T2_lSA_SA_lT3_lSA_SA_lSB_T4_lSA_SA_l.has_recursion, 0
	.set _ZN9rocsolver6v33100L16mfma_gemm_kernelI19rocblas_complex_numIfElPKS3_PS3_PKS6_S8_EEv18rocblas_operation_S9_T0_SA_SA_T1_T2_lSA_SA_lT3_lSA_SA_lSB_T4_lSA_SA_l.has_indirect_call, 0
	.section	.AMDGPU.csdata,"",@progbits
; Kernel info:
; codeLenInByte = 4
; TotalNumSgprs: 0
; NumVgprs: 0
; ScratchSize: 0
; MemoryBound: 0
; FloatMode: 240
; IeeeMode: 1
; LDSByteSize: 0 bytes/workgroup (compile time only)
; SGPRBlocks: 0
; VGPRBlocks: 0
; NumSGPRsForWavesPerEU: 1
; NumVGPRsForWavesPerEU: 1
; NamedBarCnt: 0
; Occupancy: 16
; WaveLimiterHint : 0
; COMPUTE_PGM_RSRC2:SCRATCH_EN: 0
; COMPUTE_PGM_RSRC2:USER_SGPR: 2
; COMPUTE_PGM_RSRC2:TRAP_HANDLER: 0
; COMPUTE_PGM_RSRC2:TGID_X_EN: 1
; COMPUTE_PGM_RSRC2:TGID_Y_EN: 0
; COMPUTE_PGM_RSRC2:TGID_Z_EN: 0
; COMPUTE_PGM_RSRC2:TIDIG_COMP_CNT: 0
	.section	.text._ZN9rocsolver6v33100L16mfma_gemm_kernelI19rocblas_complex_numIfElS3_PS3_PKS4_S6_EEv18rocblas_operation_S7_T0_S8_S8_T1_T2_lS8_S8_lT3_lS8_S8_lS9_T4_lS8_S8_l,"axG",@progbits,_ZN9rocsolver6v33100L16mfma_gemm_kernelI19rocblas_complex_numIfElS3_PS3_PKS4_S6_EEv18rocblas_operation_S7_T0_S8_S8_T1_T2_lS8_S8_lT3_lS8_S8_lS9_T4_lS8_S8_l,comdat
	.globl	_ZN9rocsolver6v33100L16mfma_gemm_kernelI19rocblas_complex_numIfElS3_PS3_PKS4_S6_EEv18rocblas_operation_S7_T0_S8_S8_T1_T2_lS8_S8_lT3_lS8_S8_lS9_T4_lS8_S8_l ; -- Begin function _ZN9rocsolver6v33100L16mfma_gemm_kernelI19rocblas_complex_numIfElS3_PS3_PKS4_S6_EEv18rocblas_operation_S7_T0_S8_S8_T1_T2_lS8_S8_lT3_lS8_S8_lS9_T4_lS8_S8_l
	.p2align	8
	.type	_ZN9rocsolver6v33100L16mfma_gemm_kernelI19rocblas_complex_numIfElS3_PS3_PKS4_S6_EEv18rocblas_operation_S7_T0_S8_S8_T1_T2_lS8_S8_lT3_lS8_S8_lS9_T4_lS8_S8_l,@function
_ZN9rocsolver6v33100L16mfma_gemm_kernelI19rocblas_complex_numIfElS3_PS3_PKS4_S6_EEv18rocblas_operation_S7_T0_S8_S8_T1_T2_lS8_S8_lT3_lS8_S8_lS9_T4_lS8_S8_l: ; @_ZN9rocsolver6v33100L16mfma_gemm_kernelI19rocblas_complex_numIfElS3_PS3_PKS4_S6_EEv18rocblas_operation_S7_T0_S8_S8_T1_T2_lS8_S8_lT3_lS8_S8_lS9_T4_lS8_S8_l
; %bb.0:
	s_endpgm
	.section	.rodata,"a",@progbits
	.p2align	6, 0x0
	.amdhsa_kernel _ZN9rocsolver6v33100L16mfma_gemm_kernelI19rocblas_complex_numIfElS3_PS3_PKS4_S6_EEv18rocblas_operation_S7_T0_S8_S8_T1_T2_lS8_S8_lT3_lS8_S8_lS9_T4_lS8_S8_l
		.amdhsa_group_segment_fixed_size 0
		.amdhsa_private_segment_fixed_size 0
		.amdhsa_kernarg_size 168
		.amdhsa_user_sgpr_count 2
		.amdhsa_user_sgpr_dispatch_ptr 0
		.amdhsa_user_sgpr_queue_ptr 0
		.amdhsa_user_sgpr_kernarg_segment_ptr 1
		.amdhsa_user_sgpr_dispatch_id 0
		.amdhsa_user_sgpr_kernarg_preload_length 0
		.amdhsa_user_sgpr_kernarg_preload_offset 0
		.amdhsa_user_sgpr_private_segment_size 0
		.amdhsa_wavefront_size32 1
		.amdhsa_uses_dynamic_stack 0
		.amdhsa_enable_private_segment 0
		.amdhsa_system_sgpr_workgroup_id_x 1
		.amdhsa_system_sgpr_workgroup_id_y 0
		.amdhsa_system_sgpr_workgroup_id_z 0
		.amdhsa_system_sgpr_workgroup_info 0
		.amdhsa_system_vgpr_workitem_id 0
		.amdhsa_next_free_vgpr 1
		.amdhsa_next_free_sgpr 1
		.amdhsa_named_barrier_count 0
		.amdhsa_reserve_vcc 0
		.amdhsa_float_round_mode_32 0
		.amdhsa_float_round_mode_16_64 0
		.amdhsa_float_denorm_mode_32 3
		.amdhsa_float_denorm_mode_16_64 3
		.amdhsa_fp16_overflow 0
		.amdhsa_memory_ordered 1
		.amdhsa_forward_progress 1
		.amdhsa_inst_pref_size 1
		.amdhsa_round_robin_scheduling 0
		.amdhsa_exception_fp_ieee_invalid_op 0
		.amdhsa_exception_fp_denorm_src 0
		.amdhsa_exception_fp_ieee_div_zero 0
		.amdhsa_exception_fp_ieee_overflow 0
		.amdhsa_exception_fp_ieee_underflow 0
		.amdhsa_exception_fp_ieee_inexact 0
		.amdhsa_exception_int_div_zero 0
	.end_amdhsa_kernel
	.section	.text._ZN9rocsolver6v33100L16mfma_gemm_kernelI19rocblas_complex_numIfElS3_PS3_PKS4_S6_EEv18rocblas_operation_S7_T0_S8_S8_T1_T2_lS8_S8_lT3_lS8_S8_lS9_T4_lS8_S8_l,"axG",@progbits,_ZN9rocsolver6v33100L16mfma_gemm_kernelI19rocblas_complex_numIfElS3_PS3_PKS4_S6_EEv18rocblas_operation_S7_T0_S8_S8_T1_T2_lS8_S8_lT3_lS8_S8_lS9_T4_lS8_S8_l,comdat
.Lfunc_end43:
	.size	_ZN9rocsolver6v33100L16mfma_gemm_kernelI19rocblas_complex_numIfElS3_PS3_PKS4_S6_EEv18rocblas_operation_S7_T0_S8_S8_T1_T2_lS8_S8_lT3_lS8_S8_lS9_T4_lS8_S8_l, .Lfunc_end43-_ZN9rocsolver6v33100L16mfma_gemm_kernelI19rocblas_complex_numIfElS3_PS3_PKS4_S6_EEv18rocblas_operation_S7_T0_S8_S8_T1_T2_lS8_S8_lT3_lS8_S8_lS9_T4_lS8_S8_l
                                        ; -- End function
	.set _ZN9rocsolver6v33100L16mfma_gemm_kernelI19rocblas_complex_numIfElS3_PS3_PKS4_S6_EEv18rocblas_operation_S7_T0_S8_S8_T1_T2_lS8_S8_lT3_lS8_S8_lS9_T4_lS8_S8_l.num_vgpr, 0
	.set _ZN9rocsolver6v33100L16mfma_gemm_kernelI19rocblas_complex_numIfElS3_PS3_PKS4_S6_EEv18rocblas_operation_S7_T0_S8_S8_T1_T2_lS8_S8_lT3_lS8_S8_lS9_T4_lS8_S8_l.num_agpr, 0
	.set _ZN9rocsolver6v33100L16mfma_gemm_kernelI19rocblas_complex_numIfElS3_PS3_PKS4_S6_EEv18rocblas_operation_S7_T0_S8_S8_T1_T2_lS8_S8_lT3_lS8_S8_lS9_T4_lS8_S8_l.numbered_sgpr, 0
	.set _ZN9rocsolver6v33100L16mfma_gemm_kernelI19rocblas_complex_numIfElS3_PS3_PKS4_S6_EEv18rocblas_operation_S7_T0_S8_S8_T1_T2_lS8_S8_lT3_lS8_S8_lS9_T4_lS8_S8_l.num_named_barrier, 0
	.set _ZN9rocsolver6v33100L16mfma_gemm_kernelI19rocblas_complex_numIfElS3_PS3_PKS4_S6_EEv18rocblas_operation_S7_T0_S8_S8_T1_T2_lS8_S8_lT3_lS8_S8_lS9_T4_lS8_S8_l.private_seg_size, 0
	.set _ZN9rocsolver6v33100L16mfma_gemm_kernelI19rocblas_complex_numIfElS3_PS3_PKS4_S6_EEv18rocblas_operation_S7_T0_S8_S8_T1_T2_lS8_S8_lT3_lS8_S8_lS9_T4_lS8_S8_l.uses_vcc, 0
	.set _ZN9rocsolver6v33100L16mfma_gemm_kernelI19rocblas_complex_numIfElS3_PS3_PKS4_S6_EEv18rocblas_operation_S7_T0_S8_S8_T1_T2_lS8_S8_lT3_lS8_S8_lS9_T4_lS8_S8_l.uses_flat_scratch, 0
	.set _ZN9rocsolver6v33100L16mfma_gemm_kernelI19rocblas_complex_numIfElS3_PS3_PKS4_S6_EEv18rocblas_operation_S7_T0_S8_S8_T1_T2_lS8_S8_lT3_lS8_S8_lS9_T4_lS8_S8_l.has_dyn_sized_stack, 0
	.set _ZN9rocsolver6v33100L16mfma_gemm_kernelI19rocblas_complex_numIfElS3_PS3_PKS4_S6_EEv18rocblas_operation_S7_T0_S8_S8_T1_T2_lS8_S8_lT3_lS8_S8_lS9_T4_lS8_S8_l.has_recursion, 0
	.set _ZN9rocsolver6v33100L16mfma_gemm_kernelI19rocblas_complex_numIfElS3_PS3_PKS4_S6_EEv18rocblas_operation_S7_T0_S8_S8_T1_T2_lS8_S8_lT3_lS8_S8_lS9_T4_lS8_S8_l.has_indirect_call, 0
	.section	.AMDGPU.csdata,"",@progbits
; Kernel info:
; codeLenInByte = 4
; TotalNumSgprs: 0
; NumVgprs: 0
; ScratchSize: 0
; MemoryBound: 0
; FloatMode: 240
; IeeeMode: 1
; LDSByteSize: 0 bytes/workgroup (compile time only)
; SGPRBlocks: 0
; VGPRBlocks: 0
; NumSGPRsForWavesPerEU: 1
; NumVGPRsForWavesPerEU: 1
; NamedBarCnt: 0
; Occupancy: 16
; WaveLimiterHint : 0
; COMPUTE_PGM_RSRC2:SCRATCH_EN: 0
; COMPUTE_PGM_RSRC2:USER_SGPR: 2
; COMPUTE_PGM_RSRC2:TRAP_HANDLER: 0
; COMPUTE_PGM_RSRC2:TGID_X_EN: 1
; COMPUTE_PGM_RSRC2:TGID_Y_EN: 0
; COMPUTE_PGM_RSRC2:TGID_Z_EN: 0
; COMPUTE_PGM_RSRC2:TIDIG_COMP_CNT: 0
	.section	.text._ZN9rocsolver6v33100L11gemm_kernelI19rocblas_complex_numIfElPKS3_PS3_PKS6_S8_EEvT0_S9_S9_T1_bT2_lS9_S9_lbT3_lS9_S9_lSA_T4_lS9_S9_l,"axG",@progbits,_ZN9rocsolver6v33100L11gemm_kernelI19rocblas_complex_numIfElPKS3_PS3_PKS6_S8_EEvT0_S9_S9_T1_bT2_lS9_S9_lbT3_lS9_S9_lSA_T4_lS9_S9_l,comdat
	.globl	_ZN9rocsolver6v33100L11gemm_kernelI19rocblas_complex_numIfElPKS3_PS3_PKS6_S8_EEvT0_S9_S9_T1_bT2_lS9_S9_lbT3_lS9_S9_lSA_T4_lS9_S9_l ; -- Begin function _ZN9rocsolver6v33100L11gemm_kernelI19rocblas_complex_numIfElPKS3_PS3_PKS6_S8_EEvT0_S9_S9_T1_bT2_lS9_S9_lbT3_lS9_S9_lSA_T4_lS9_S9_l
	.p2align	8
	.type	_ZN9rocsolver6v33100L11gemm_kernelI19rocblas_complex_numIfElPKS3_PS3_PKS6_S8_EEvT0_S9_S9_T1_bT2_lS9_S9_lbT3_lS9_S9_lSA_T4_lS9_S9_l,@function
_ZN9rocsolver6v33100L11gemm_kernelI19rocblas_complex_numIfElPKS3_PS3_PKS6_S8_EEvT0_S9_S9_T1_bT2_lS9_S9_lbT3_lS9_S9_lSA_T4_lS9_S9_l: ; @_ZN9rocsolver6v33100L11gemm_kernelI19rocblas_complex_numIfElPKS3_PS3_PKS6_S8_EEvT0_S9_S9_T1_bT2_lS9_S9_lbT3_lS9_S9_lSA_T4_lS9_S9_l
; %bb.0:
	s_load_b32 s2, s[0:1], 0xbc
	s_bfe_u32 s12, ttmp6, 0x40010
	s_bfe_u32 s15, ttmp6, 0x4000c
	s_and_b32 s3, ttmp7, 0xffff
	s_add_co_i32 s12, s12, 1
	s_add_co_i32 s15, s15, 1
	s_bfe_u32 s13, ttmp6, 0x40004
	s_and_b32 s14, ttmp6, 15
	s_mul_i32 s12, s3, s12
	s_mul_i32 s15, ttmp9, s15
	s_getreg_b32 s20, hwreg(HW_REG_IB_STS2, 6, 4)
	v_mov_b32_e32 v5, 0
	v_and_b32_e32 v4, 0x3ff, v0
	s_add_co_i32 s13, s13, s12
	s_add_co_i32 s14, s14, s15
	s_load_b256 s[4:11], s[0:1], 0x0
	s_wait_kmcnt 0x0
	s_lshr_b32 s12, s2, 16
	s_and_b32 s2, s2, 0xffff
	s_cmp_eq_u32 s20, 0
	s_cselect_b32 s14, ttmp9, s14
	s_delay_alu instid0(SALU_CYCLE_1)
	v_mad_nc_u64_u32 v[2:3], s2, s14, v[4:5]
	v_bfe_u32 v4, v0, 10, 10
	s_cselect_b32 s2, s3, s13
	s_delay_alu instid0(VALU_DEP_1) | instid1(SALU_CYCLE_1)
	v_mad_nc_u64_u32 v[0:1], s12, s2, v[4:5]
	s_delay_alu instid0(VALU_DEP_3) | instskip(SKIP_1) | instid1(VALU_DEP_2)
	v_cmp_gt_i64_e32 vcc_lo, s[4:5], v[2:3]
	s_mov_b32 s5, 0
	v_cmp_gt_i64_e64 s2, s[6:7], v[0:1]
	s_and_b32 s2, vcc_lo, s2
	s_delay_alu instid0(SALU_CYCLE_1)
	s_and_saveexec_b32 s3, s2
	s_cbranch_execz .LBB44_9
; %bb.1:
	s_clause 0x1
	s_load_b256 s[12:19], s[0:1], 0x80
	s_load_b64 s[2:3], s[0:1], 0xa0
	s_load_b64 s[28:29], s[10:11], 0x0
	s_bfe_u32 s4, ttmp6, 0x40014
	s_wait_xcnt 0x0
	s_lshr_b32 s10, ttmp7, 16
	s_add_co_i32 s4, s4, 1
	v_cmp_lt_i64_e64 s11, s[8:9], 1
	s_mul_i32 s4, s10, s4
	v_mov_b32_e32 v4, 0
	s_wait_kmcnt 0x0
	s_load_b64 s[6:7], s[12:13], 0x0
	s_wait_xcnt 0x0
	s_bfe_u32 s12, ttmp6, 0x40008
	s_delay_alu instid0(SALU_CYCLE_1)
	s_add_co_i32 s12, s12, s4
	s_cmp_eq_u32 s20, 0
	s_cselect_b32 s4, s10, s12
	s_and_b32 vcc_lo, exec_lo, s11
	s_cbranch_vccnz .LBB44_8
; %bb.2:
	s_clause 0x3
	s_load_b256 s[20:27], s[0:1], 0x28
	s_load_b256 s[36:43], s[0:1], 0x58
	s_load_b32 s12, s[0:1], 0x20
	s_load_b96 s[44:46], s[0:1], 0x48
	s_wait_kmcnt 0x0
	s_load_b64 s[10:11], s[36:37], s4 offset:0x0 scale_offset
	v_mul_u64_e32 v[4:5], s[24:25], v[2:3]
	v_mul_u64_e32 v[6:7], s[42:43], v[0:1]
	s_bitcmp1_b32 s12, 0
	s_cselect_b32 s0, -1, 0
	s_delay_alu instid0(SALU_CYCLE_1)
	s_xor_b32 s12, s0, -1
	s_bitcmp1_b32 s46, 0
	s_mul_u64 s[0:1], s[44:45], s[4:5]
	s_cselect_b32 s5, -1, 0
	s_lshl_b64 s[22:23], s[22:23], 3
	s_lshl_b64 s[0:1], s[0:1], 3
	s_add_nc_u64 s[20:21], s[20:21], s[22:23]
	s_lshl_b64 s[22:23], s[38:39], 3
	s_add_nc_u64 s[0:1], s[20:21], s[0:1]
	s_wait_kmcnt 0x0
	s_add_nc_u64 s[10:11], s[10:11], s[22:23]
	s_delay_alu instid0(VALU_DEP_2) | instskip(NEXT) | instid1(VALU_DEP_2)
	v_lshl_add_u64 v[4:5], v[4:5], 3, s[0:1]
	v_lshl_add_u64 v[8:9], v[6:7], 3, s[10:11]
	s_lshl_b64 s[0:1], s[26:27], 3
	s_lshl_b64 s[10:11], s[40:41], 3
	s_delay_alu instid0(VALU_DEP_2) | instskip(NEXT) | instid1(VALU_DEP_2)
	v_add_nc_u64_e32 v[6:7], 4, v[4:5]
	v_add_nc_u64_e32 v[8:9], 4, v[8:9]
	v_dual_mov_b32 v5, 0 :: v_dual_mov_b32 v4, 0
	s_branch .LBB44_4
.LBB44_3:                               ;   in Loop: Header=BB44_4 Depth=1
	flat_load_b64 v[12:13], v[8:9] offset:-4
	s_wait_xcnt 0x1
	v_add_nc_u64_e32 v[6:7], s[0:1], v[6:7]
	s_wait_xcnt 0x0
	v_add_nc_u64_e32 v[8:9], s[10:11], v[8:9]
	s_add_nc_u64 s[8:9], s[8:9], -1
	s_delay_alu instid0(SALU_CYCLE_1) | instskip(SKIP_2) | instid1(VALU_DEP_1)
	s_cmp_eq_u64 s[8:9], 0
	s_wait_loadcnt_dscnt 0x0
	v_dual_cndmask_b32 v13, v13, -v13, s5 :: v_dual_mul_f32 v14, v11, v12
	v_dual_mul_f32 v11, v11, v13 :: v_dual_fmac_f32 v14, v13, v10
	s_delay_alu instid0(VALU_DEP_1) | instskip(NEXT) | instid1(VALU_DEP_2)
	v_fma_f32 v10, v12, v10, -v11
	v_add_f32_e32 v5, v5, v14
	s_delay_alu instid0(VALU_DEP_2)
	v_add_f32_e32 v4, v4, v10
	s_cbranch_scc1 .LBB44_8
.LBB44_4:                               ; =>This Inner Loop Header: Depth=1
	s_and_b32 vcc_lo, exec_lo, s12
	s_mov_b32 s13, -1
                                        ; implicit-def: $vgpr11
	s_cbranch_vccz .LBB44_6
; %bb.5:                                ;   in Loop: Header=BB44_4 Depth=1
	global_load_b64 v[10:11], v[6:7], off offset:-4
	s_mov_b32 s13, 0
.LBB44_6:                               ;   in Loop: Header=BB44_4 Depth=1
	s_delay_alu instid0(SALU_CYCLE_1)
	s_and_not1_b32 vcc_lo, exec_lo, s13
	s_cbranch_vccnz .LBB44_3
; %bb.7:                                ;   in Loop: Header=BB44_4 Depth=1
	s_wait_loadcnt 0x0
	global_load_b64 v[10:11], v[6:7], off offset:-4
	s_wait_loadcnt 0x0
	v_xor_b32_e32 v11, 0x80000000, v11
	s_branch .LBB44_3
.LBB44_8:
	v_mul_u64_e32 v[2:3], s[18:19], v[2:3]
	v_mul_u64_e32 v[0:1], s[2:3], v[0:1]
	s_load_b64 s[0:1], s[14:15], s4 offset:0x0 scale_offset
	s_lshl_b64 s[2:3], s[16:17], 3
	v_mov_b64_e32 v[8:9], s[28:29]
	s_wait_kmcnt 0x0
	v_mov_b64_e32 v[10:11], s[6:7]
	v_mov_b32_e32 v6, v5
	s_delay_alu instid0(VALU_DEP_1) | instskip(NEXT) | instid1(VALU_DEP_1)
	v_pk_mul_f32 v[6:7], v[8:9], v[6:7] op_sel:[1,0] op_sel_hi:[0,0]
	v_pk_fma_f32 v[14:15], v[8:9], v[4:5], v[6:7] op_sel_hi:[1,0,1]
	v_pk_fma_f32 v[4:5], v[8:9], v[4:5], v[6:7] neg_lo:[0,0,1] neg_hi:[0,0,1]
	s_delay_alu instid0(VALU_DEP_2) | instskip(SKIP_1) | instid1(SALU_CYCLE_1)
	v_mov_b32_e32 v5, v15
	s_add_nc_u64 s[0:1], s[0:1], s[2:3]
	v_lshl_add_u64 v[2:3], v[2:3], 3, s[0:1]
	s_delay_alu instid0(VALU_DEP_1) | instskip(SKIP_3) | instid1(VALU_DEP_1)
	v_lshl_add_u64 v[0:1], v[0:1], 3, v[2:3]
	flat_load_b64 v[2:3], v[0:1]
	s_wait_loadcnt_dscnt 0x0
	v_pk_mul_f32 v[12:13], v[10:11], v[2:3] op_sel:[1,1] op_sel_hi:[0,1]
	v_pk_fma_f32 v[16:17], v[10:11], v[2:3], v[12:13] op_sel_hi:[1,0,1]
	v_pk_fma_f32 v[2:3], v[10:11], v[2:3], v[12:13] neg_lo:[0,0,1] neg_hi:[0,0,1]
	s_delay_alu instid0(VALU_DEP_2) | instskip(NEXT) | instid1(VALU_DEP_1)
	v_mov_b32_e32 v3, v17
	v_pk_add_f32 v[2:3], v[4:5], v[2:3]
	flat_store_b64 v[0:1], v[2:3]
.LBB44_9:
	s_endpgm
	.section	.rodata,"a",@progbits
	.p2align	6, 0x0
	.amdhsa_kernel _ZN9rocsolver6v33100L11gemm_kernelI19rocblas_complex_numIfElPKS3_PS3_PKS6_S8_EEvT0_S9_S9_T1_bT2_lS9_S9_lbT3_lS9_S9_lSA_T4_lS9_S9_l
		.amdhsa_group_segment_fixed_size 0
		.amdhsa_private_segment_fixed_size 0
		.amdhsa_kernarg_size 432
		.amdhsa_user_sgpr_count 2
		.amdhsa_user_sgpr_dispatch_ptr 0
		.amdhsa_user_sgpr_queue_ptr 0
		.amdhsa_user_sgpr_kernarg_segment_ptr 1
		.amdhsa_user_sgpr_dispatch_id 0
		.amdhsa_user_sgpr_kernarg_preload_length 0
		.amdhsa_user_sgpr_kernarg_preload_offset 0
		.amdhsa_user_sgpr_private_segment_size 0
		.amdhsa_wavefront_size32 1
		.amdhsa_uses_dynamic_stack 0
		.amdhsa_enable_private_segment 0
		.amdhsa_system_sgpr_workgroup_id_x 1
		.amdhsa_system_sgpr_workgroup_id_y 1
		.amdhsa_system_sgpr_workgroup_id_z 1
		.amdhsa_system_sgpr_workgroup_info 0
		.amdhsa_system_vgpr_workitem_id 1
		.amdhsa_next_free_vgpr 18
		.amdhsa_next_free_sgpr 47
		.amdhsa_named_barrier_count 0
		.amdhsa_reserve_vcc 1
		.amdhsa_float_round_mode_32 0
		.amdhsa_float_round_mode_16_64 0
		.amdhsa_float_denorm_mode_32 3
		.amdhsa_float_denorm_mode_16_64 3
		.amdhsa_fp16_overflow 0
		.amdhsa_memory_ordered 1
		.amdhsa_forward_progress 1
		.amdhsa_inst_pref_size 7
		.amdhsa_round_robin_scheduling 0
		.amdhsa_exception_fp_ieee_invalid_op 0
		.amdhsa_exception_fp_denorm_src 0
		.amdhsa_exception_fp_ieee_div_zero 0
		.amdhsa_exception_fp_ieee_overflow 0
		.amdhsa_exception_fp_ieee_underflow 0
		.amdhsa_exception_fp_ieee_inexact 0
		.amdhsa_exception_int_div_zero 0
	.end_amdhsa_kernel
	.section	.text._ZN9rocsolver6v33100L11gemm_kernelI19rocblas_complex_numIfElPKS3_PS3_PKS6_S8_EEvT0_S9_S9_T1_bT2_lS9_S9_lbT3_lS9_S9_lSA_T4_lS9_S9_l,"axG",@progbits,_ZN9rocsolver6v33100L11gemm_kernelI19rocblas_complex_numIfElPKS3_PS3_PKS6_S8_EEvT0_S9_S9_T1_bT2_lS9_S9_lbT3_lS9_S9_lSA_T4_lS9_S9_l,comdat
.Lfunc_end44:
	.size	_ZN9rocsolver6v33100L11gemm_kernelI19rocblas_complex_numIfElPKS3_PS3_PKS6_S8_EEvT0_S9_S9_T1_bT2_lS9_S9_lbT3_lS9_S9_lSA_T4_lS9_S9_l, .Lfunc_end44-_ZN9rocsolver6v33100L11gemm_kernelI19rocblas_complex_numIfElPKS3_PS3_PKS6_S8_EEvT0_S9_S9_T1_bT2_lS9_S9_lbT3_lS9_S9_lSA_T4_lS9_S9_l
                                        ; -- End function
	.set _ZN9rocsolver6v33100L11gemm_kernelI19rocblas_complex_numIfElPKS3_PS3_PKS6_S8_EEvT0_S9_S9_T1_bT2_lS9_S9_lbT3_lS9_S9_lSA_T4_lS9_S9_l.num_vgpr, 18
	.set _ZN9rocsolver6v33100L11gemm_kernelI19rocblas_complex_numIfElPKS3_PS3_PKS6_S8_EEvT0_S9_S9_T1_bT2_lS9_S9_lbT3_lS9_S9_lSA_T4_lS9_S9_l.num_agpr, 0
	.set _ZN9rocsolver6v33100L11gemm_kernelI19rocblas_complex_numIfElPKS3_PS3_PKS6_S8_EEvT0_S9_S9_T1_bT2_lS9_S9_lbT3_lS9_S9_lSA_T4_lS9_S9_l.numbered_sgpr, 47
	.set _ZN9rocsolver6v33100L11gemm_kernelI19rocblas_complex_numIfElPKS3_PS3_PKS6_S8_EEvT0_S9_S9_T1_bT2_lS9_S9_lbT3_lS9_S9_lSA_T4_lS9_S9_l.num_named_barrier, 0
	.set _ZN9rocsolver6v33100L11gemm_kernelI19rocblas_complex_numIfElPKS3_PS3_PKS6_S8_EEvT0_S9_S9_T1_bT2_lS9_S9_lbT3_lS9_S9_lSA_T4_lS9_S9_l.private_seg_size, 0
	.set _ZN9rocsolver6v33100L11gemm_kernelI19rocblas_complex_numIfElPKS3_PS3_PKS6_S8_EEvT0_S9_S9_T1_bT2_lS9_S9_lbT3_lS9_S9_lSA_T4_lS9_S9_l.uses_vcc, 1
	.set _ZN9rocsolver6v33100L11gemm_kernelI19rocblas_complex_numIfElPKS3_PS3_PKS6_S8_EEvT0_S9_S9_T1_bT2_lS9_S9_lbT3_lS9_S9_lSA_T4_lS9_S9_l.uses_flat_scratch, 0
	.set _ZN9rocsolver6v33100L11gemm_kernelI19rocblas_complex_numIfElPKS3_PS3_PKS6_S8_EEvT0_S9_S9_T1_bT2_lS9_S9_lbT3_lS9_S9_lSA_T4_lS9_S9_l.has_dyn_sized_stack, 0
	.set _ZN9rocsolver6v33100L11gemm_kernelI19rocblas_complex_numIfElPKS3_PS3_PKS6_S8_EEvT0_S9_S9_T1_bT2_lS9_S9_lbT3_lS9_S9_lSA_T4_lS9_S9_l.has_recursion, 0
	.set _ZN9rocsolver6v33100L11gemm_kernelI19rocblas_complex_numIfElPKS3_PS3_PKS6_S8_EEvT0_S9_S9_T1_bT2_lS9_S9_lbT3_lS9_S9_lSA_T4_lS9_S9_l.has_indirect_call, 0
	.section	.AMDGPU.csdata,"",@progbits
; Kernel info:
; codeLenInByte = 796
; TotalNumSgprs: 49
; NumVgprs: 18
; ScratchSize: 0
; MemoryBound: 0
; FloatMode: 240
; IeeeMode: 1
; LDSByteSize: 0 bytes/workgroup (compile time only)
; SGPRBlocks: 0
; VGPRBlocks: 1
; NumSGPRsForWavesPerEU: 49
; NumVGPRsForWavesPerEU: 18
; NamedBarCnt: 0
; Occupancy: 16
; WaveLimiterHint : 1
; COMPUTE_PGM_RSRC2:SCRATCH_EN: 0
; COMPUTE_PGM_RSRC2:USER_SGPR: 2
; COMPUTE_PGM_RSRC2:TRAP_HANDLER: 0
; COMPUTE_PGM_RSRC2:TGID_X_EN: 1
; COMPUTE_PGM_RSRC2:TGID_Y_EN: 1
; COMPUTE_PGM_RSRC2:TGID_Z_EN: 1
; COMPUTE_PGM_RSRC2:TIDIG_COMP_CNT: 1
	.section	.text._ZN9rocsolver6v33100L11gemm_kernelI19rocblas_complex_numIfElS3_PS3_PKS4_S6_EEvT0_S7_S7_T1_bT2_lS7_S7_lbT3_lS7_S7_lS8_T4_lS7_S7_l,"axG",@progbits,_ZN9rocsolver6v33100L11gemm_kernelI19rocblas_complex_numIfElS3_PS3_PKS4_S6_EEvT0_S7_S7_T1_bT2_lS7_S7_lbT3_lS7_S7_lS8_T4_lS7_S7_l,comdat
	.globl	_ZN9rocsolver6v33100L11gemm_kernelI19rocblas_complex_numIfElS3_PS3_PKS4_S6_EEvT0_S7_S7_T1_bT2_lS7_S7_lbT3_lS7_S7_lS8_T4_lS7_S7_l ; -- Begin function _ZN9rocsolver6v33100L11gemm_kernelI19rocblas_complex_numIfElS3_PS3_PKS4_S6_EEvT0_S7_S7_T1_bT2_lS7_S7_lbT3_lS7_S7_lS8_T4_lS7_S7_l
	.p2align	8
	.type	_ZN9rocsolver6v33100L11gemm_kernelI19rocblas_complex_numIfElS3_PS3_PKS4_S6_EEvT0_S7_S7_T1_bT2_lS7_S7_lbT3_lS7_S7_lS8_T4_lS7_S7_l,@function
_ZN9rocsolver6v33100L11gemm_kernelI19rocblas_complex_numIfElS3_PS3_PKS4_S6_EEvT0_S7_S7_T1_bT2_lS7_S7_lbT3_lS7_S7_lS8_T4_lS7_S7_l: ; @_ZN9rocsolver6v33100L11gemm_kernelI19rocblas_complex_numIfElS3_PS3_PKS4_S6_EEvT0_S7_S7_T1_bT2_lS7_S7_lbT3_lS7_S7_lS8_T4_lS7_S7_l
; %bb.0:
	s_clause 0x1
	s_load_b32 s2, s[0:1], 0xbc
	s_load_b128 s[4:7], s[0:1], 0x0
	s_bfe_u32 s8, ttmp6, 0x40010
	s_bfe_u32 s11, ttmp6, 0x4000c
	s_and_b32 s3, ttmp7, 0xffff
	s_add_co_i32 s8, s8, 1
	s_add_co_i32 s11, s11, 1
	s_bfe_u32 s9, ttmp6, 0x40004
	s_and_b32 s10, ttmp6, 15
	s_mul_i32 s8, s3, s8
	s_mul_i32 s11, ttmp9, s11
	s_getreg_b32 s12, hwreg(HW_REG_IB_STS2, 6, 4)
	v_mov_b32_e32 v5, 0
	v_and_b32_e32 v4, 0x3ff, v0
	s_add_co_i32 s9, s9, s8
	s_add_co_i32 s10, s10, s11
	s_mov_b32 s35, 0
	s_wait_kmcnt 0x0
	s_lshr_b32 s8, s2, 16
	s_and_b32 s2, s2, 0xffff
	s_cmp_eq_u32 s12, 0
	s_cselect_b32 s10, ttmp9, s10
	s_delay_alu instid0(SALU_CYCLE_1)
	v_mad_nc_u64_u32 v[2:3], s2, s10, v[4:5]
	v_bfe_u32 v4, v0, 10, 10
	s_cselect_b32 s2, s3, s9
	s_delay_alu instid0(VALU_DEP_1) | instid1(SALU_CYCLE_1)
	v_mad_nc_u64_u32 v[0:1], s8, s2, v[4:5]
	s_delay_alu instid0(VALU_DEP_3) | instskip(NEXT) | instid1(VALU_DEP_2)
	v_cmp_gt_i64_e32 vcc_lo, s[4:5], v[2:3]
	v_cmp_gt_i64_e64 s2, s[6:7], v[0:1]
	s_and_b32 s2, vcc_lo, s2
	s_delay_alu instid0(SALU_CYCLE_1)
	s_and_saveexec_b32 s3, s2
	s_cbranch_execz .LBB45_9
; %bb.1:
	s_clause 0x3
	s_load_b64 s[36:37], s[0:1], 0x10
	s_load_b96 s[28:30], s[0:1], 0x18
	s_load_b256 s[4:11], s[0:1], 0x88
	s_load_b64 s[2:3], s[0:1], 0x80
	s_bfe_u32 s14, ttmp6, 0x40014
	s_lshr_b32 s13, ttmp7, 16
	s_add_co_i32 s14, s14, 1
	s_bfe_u32 s15, ttmp6, 0x40008
	s_mul_i32 s14, s13, s14
	v_mov_b32_e32 v4, 0
	s_add_co_i32 s15, s15, s14
	s_cmp_eq_u32 s12, 0
	s_cselect_b32 s34, s13, s15
	s_wait_kmcnt 0x0
	v_cmp_lt_i64_e64 s16, s[36:37], 1
	s_and_b32 vcc_lo, exec_lo, s16
	s_cbranch_vccnz .LBB45_8
; %bb.2:
	s_clause 0x1
	s_load_b256 s[12:19], s[0:1], 0x28
	s_load_b256 s[20:27], s[0:1], 0x58
	s_bitcmp1_b32 s30, 0
	s_wait_kmcnt 0x0
	v_mul_u64_e32 v[4:5], s[16:17], v[2:3]
	v_mul_u64_e32 v[6:7], s[26:27], v[0:1]
	s_load_b96 s[40:42], s[0:1], 0x48
	s_load_b64 s[26:27], s[20:21], s34 offset:0x0 scale_offset
	s_wait_xcnt 0x0
	s_cselect_b32 s0, -1, 0
	s_delay_alu instid0(SALU_CYCLE_1)
	s_xor_b32 s16, s0, -1
	s_wait_kmcnt 0x0
	s_bitcmp1_b32 s42, 0
	s_mul_u64 s[0:1], s[40:41], s[34:35]
	s_cselect_b32 s17, -1, 0
	s_lshl_b64 s[14:15], s[14:15], 3
	s_lshl_b64 s[0:1], s[0:1], 3
	s_add_nc_u64 s[12:13], s[12:13], s[14:15]
	s_lshl_b64 s[14:15], s[22:23], 3
	s_add_nc_u64 s[0:1], s[12:13], s[0:1]
	s_add_nc_u64 s[12:13], s[26:27], s[14:15]
	s_delay_alu instid0(VALU_DEP_2) | instskip(NEXT) | instid1(VALU_DEP_2)
	v_lshl_add_u64 v[4:5], v[4:5], 3, s[0:1]
	v_lshl_add_u64 v[8:9], v[6:7], 3, s[12:13]
	s_lshl_b64 s[0:1], s[18:19], 3
	s_lshl_b64 s[12:13], s[24:25], 3
	s_delay_alu instid0(VALU_DEP_2) | instskip(NEXT) | instid1(VALU_DEP_2)
	v_add_nc_u64_e32 v[6:7], 4, v[4:5]
	v_add_nc_u64_e32 v[8:9], 4, v[8:9]
	v_dual_mov_b32 v5, 0 :: v_dual_mov_b32 v4, 0
	s_branch .LBB45_4
.LBB45_3:                               ;   in Loop: Header=BB45_4 Depth=1
	flat_load_b64 v[12:13], v[8:9] offset:-4
	s_wait_xcnt 0x1
	v_add_nc_u64_e32 v[6:7], s[0:1], v[6:7]
	s_wait_xcnt 0x0
	v_add_nc_u64_e32 v[8:9], s[12:13], v[8:9]
	s_add_nc_u64 s[36:37], s[36:37], -1
	s_delay_alu instid0(SALU_CYCLE_1) | instskip(SKIP_2) | instid1(VALU_DEP_1)
	s_cmp_eq_u64 s[36:37], 0
	s_wait_loadcnt_dscnt 0x0
	v_dual_cndmask_b32 v13, v13, -v13, s17 :: v_dual_mul_f32 v14, v11, v12
	v_dual_mul_f32 v11, v11, v13 :: v_dual_fmac_f32 v14, v13, v10
	s_delay_alu instid0(VALU_DEP_1) | instskip(NEXT) | instid1(VALU_DEP_2)
	v_fma_f32 v10, v12, v10, -v11
	v_add_f32_e32 v5, v5, v14
	s_delay_alu instid0(VALU_DEP_2)
	v_add_f32_e32 v4, v4, v10
	s_cbranch_scc1 .LBB45_8
.LBB45_4:                               ; =>This Inner Loop Header: Depth=1
	s_and_b32 vcc_lo, exec_lo, s16
	s_mov_b32 s14, -1
                                        ; implicit-def: $vgpr11
	s_cbranch_vccz .LBB45_6
; %bb.5:                                ;   in Loop: Header=BB45_4 Depth=1
	global_load_b64 v[10:11], v[6:7], off offset:-4
	s_mov_b32 s14, 0
.LBB45_6:                               ;   in Loop: Header=BB45_4 Depth=1
	s_delay_alu instid0(SALU_CYCLE_1)
	s_and_not1_b32 vcc_lo, exec_lo, s14
	s_cbranch_vccnz .LBB45_3
; %bb.7:                                ;   in Loop: Header=BB45_4 Depth=1
	s_wait_loadcnt 0x0
	global_load_b64 v[10:11], v[6:7], off offset:-4
	s_wait_loadcnt 0x0
	v_xor_b32_e32 v11, 0x80000000, v11
	s_branch .LBB45_3
.LBB45_8:
	v_mul_u64_e32 v[2:3], s[8:9], v[2:3]
	v_mul_u64_e32 v[0:1], s[10:11], v[0:1]
	s_load_b64 s[0:1], s[4:5], s34 offset:0x0 scale_offset
	s_wait_xcnt 0x0
	s_lshl_b64 s[4:5], s[6:7], 3
	v_mov_b64_e32 v[8:9], s[28:29]
	v_mov_b64_e32 v[10:11], s[2:3]
	v_mov_b32_e32 v6, v5
	s_delay_alu instid0(VALU_DEP_1) | instskip(NEXT) | instid1(VALU_DEP_1)
	v_pk_mul_f32 v[6:7], v[8:9], v[6:7] op_sel:[1,0] op_sel_hi:[0,0]
	v_pk_fma_f32 v[14:15], v[8:9], v[4:5], v[6:7] op_sel_hi:[1,0,1]
	v_pk_fma_f32 v[4:5], v[8:9], v[4:5], v[6:7] neg_lo:[0,0,1] neg_hi:[0,0,1]
	s_delay_alu instid0(VALU_DEP_2) | instskip(SKIP_2) | instid1(SALU_CYCLE_1)
	v_mov_b32_e32 v5, v15
	s_wait_kmcnt 0x0
	s_add_nc_u64 s[0:1], s[0:1], s[4:5]
	v_lshl_add_u64 v[2:3], v[2:3], 3, s[0:1]
	s_delay_alu instid0(VALU_DEP_1) | instskip(SKIP_3) | instid1(VALU_DEP_1)
	v_lshl_add_u64 v[0:1], v[0:1], 3, v[2:3]
	flat_load_b64 v[2:3], v[0:1]
	s_wait_loadcnt_dscnt 0x0
	v_pk_mul_f32 v[12:13], v[10:11], v[2:3] op_sel:[1,1] op_sel_hi:[0,1]
	v_pk_fma_f32 v[16:17], v[10:11], v[2:3], v[12:13] op_sel_hi:[1,0,1]
	v_pk_fma_f32 v[2:3], v[10:11], v[2:3], v[12:13] neg_lo:[0,0,1] neg_hi:[0,0,1]
	s_delay_alu instid0(VALU_DEP_2) | instskip(NEXT) | instid1(VALU_DEP_1)
	v_mov_b32_e32 v3, v17
	v_pk_add_f32 v[2:3], v[4:5], v[2:3]
	flat_store_b64 v[0:1], v[2:3]
.LBB45_9:
	s_endpgm
	.section	.rodata,"a",@progbits
	.p2align	6, 0x0
	.amdhsa_kernel _ZN9rocsolver6v33100L11gemm_kernelI19rocblas_complex_numIfElS3_PS3_PKS4_S6_EEvT0_S7_S7_T1_bT2_lS7_S7_lbT3_lS7_S7_lS8_T4_lS7_S7_l
		.amdhsa_group_segment_fixed_size 0
		.amdhsa_private_segment_fixed_size 0
		.amdhsa_kernarg_size 432
		.amdhsa_user_sgpr_count 2
		.amdhsa_user_sgpr_dispatch_ptr 0
		.amdhsa_user_sgpr_queue_ptr 0
		.amdhsa_user_sgpr_kernarg_segment_ptr 1
		.amdhsa_user_sgpr_dispatch_id 0
		.amdhsa_user_sgpr_kernarg_preload_length 0
		.amdhsa_user_sgpr_kernarg_preload_offset 0
		.amdhsa_user_sgpr_private_segment_size 0
		.amdhsa_wavefront_size32 1
		.amdhsa_uses_dynamic_stack 0
		.amdhsa_enable_private_segment 0
		.amdhsa_system_sgpr_workgroup_id_x 1
		.amdhsa_system_sgpr_workgroup_id_y 1
		.amdhsa_system_sgpr_workgroup_id_z 1
		.amdhsa_system_sgpr_workgroup_info 0
		.amdhsa_system_vgpr_workitem_id 1
		.amdhsa_next_free_vgpr 18
		.amdhsa_next_free_sgpr 43
		.amdhsa_named_barrier_count 0
		.amdhsa_reserve_vcc 1
		.amdhsa_float_round_mode_32 0
		.amdhsa_float_round_mode_16_64 0
		.amdhsa_float_denorm_mode_32 3
		.amdhsa_float_denorm_mode_16_64 3
		.amdhsa_fp16_overflow 0
		.amdhsa_memory_ordered 1
		.amdhsa_forward_progress 1
		.amdhsa_inst_pref_size 7
		.amdhsa_round_robin_scheduling 0
		.amdhsa_exception_fp_ieee_invalid_op 0
		.amdhsa_exception_fp_denorm_src 0
		.amdhsa_exception_fp_ieee_div_zero 0
		.amdhsa_exception_fp_ieee_overflow 0
		.amdhsa_exception_fp_ieee_underflow 0
		.amdhsa_exception_fp_ieee_inexact 0
		.amdhsa_exception_int_div_zero 0
	.end_amdhsa_kernel
	.section	.text._ZN9rocsolver6v33100L11gemm_kernelI19rocblas_complex_numIfElS3_PS3_PKS4_S6_EEvT0_S7_S7_T1_bT2_lS7_S7_lbT3_lS7_S7_lS8_T4_lS7_S7_l,"axG",@progbits,_ZN9rocsolver6v33100L11gemm_kernelI19rocblas_complex_numIfElS3_PS3_PKS4_S6_EEvT0_S7_S7_T1_bT2_lS7_S7_lbT3_lS7_S7_lS8_T4_lS7_S7_l,comdat
.Lfunc_end45:
	.size	_ZN9rocsolver6v33100L11gemm_kernelI19rocblas_complex_numIfElS3_PS3_PKS4_S6_EEvT0_S7_S7_T1_bT2_lS7_S7_lbT3_lS7_S7_lS8_T4_lS7_S7_l, .Lfunc_end45-_ZN9rocsolver6v33100L11gemm_kernelI19rocblas_complex_numIfElS3_PS3_PKS4_S6_EEvT0_S7_S7_T1_bT2_lS7_S7_lbT3_lS7_S7_lS8_T4_lS7_S7_l
                                        ; -- End function
	.set _ZN9rocsolver6v33100L11gemm_kernelI19rocblas_complex_numIfElS3_PS3_PKS4_S6_EEvT0_S7_S7_T1_bT2_lS7_S7_lbT3_lS7_S7_lS8_T4_lS7_S7_l.num_vgpr, 18
	.set _ZN9rocsolver6v33100L11gemm_kernelI19rocblas_complex_numIfElS3_PS3_PKS4_S6_EEvT0_S7_S7_T1_bT2_lS7_S7_lbT3_lS7_S7_lS8_T4_lS7_S7_l.num_agpr, 0
	.set _ZN9rocsolver6v33100L11gemm_kernelI19rocblas_complex_numIfElS3_PS3_PKS4_S6_EEvT0_S7_S7_T1_bT2_lS7_S7_lbT3_lS7_S7_lS8_T4_lS7_S7_l.numbered_sgpr, 43
	.set _ZN9rocsolver6v33100L11gemm_kernelI19rocblas_complex_numIfElS3_PS3_PKS4_S6_EEvT0_S7_S7_T1_bT2_lS7_S7_lbT3_lS7_S7_lS8_T4_lS7_S7_l.num_named_barrier, 0
	.set _ZN9rocsolver6v33100L11gemm_kernelI19rocblas_complex_numIfElS3_PS3_PKS4_S6_EEvT0_S7_S7_T1_bT2_lS7_S7_lbT3_lS7_S7_lS8_T4_lS7_S7_l.private_seg_size, 0
	.set _ZN9rocsolver6v33100L11gemm_kernelI19rocblas_complex_numIfElS3_PS3_PKS4_S6_EEvT0_S7_S7_T1_bT2_lS7_S7_lbT3_lS7_S7_lS8_T4_lS7_S7_l.uses_vcc, 1
	.set _ZN9rocsolver6v33100L11gemm_kernelI19rocblas_complex_numIfElS3_PS3_PKS4_S6_EEvT0_S7_S7_T1_bT2_lS7_S7_lbT3_lS7_S7_lS8_T4_lS7_S7_l.uses_flat_scratch, 0
	.set _ZN9rocsolver6v33100L11gemm_kernelI19rocblas_complex_numIfElS3_PS3_PKS4_S6_EEvT0_S7_S7_T1_bT2_lS7_S7_lbT3_lS7_S7_lS8_T4_lS7_S7_l.has_dyn_sized_stack, 0
	.set _ZN9rocsolver6v33100L11gemm_kernelI19rocblas_complex_numIfElS3_PS3_PKS4_S6_EEvT0_S7_S7_T1_bT2_lS7_S7_lbT3_lS7_S7_lS8_T4_lS7_S7_l.has_recursion, 0
	.set _ZN9rocsolver6v33100L11gemm_kernelI19rocblas_complex_numIfElS3_PS3_PKS4_S6_EEvT0_S7_S7_T1_bT2_lS7_S7_lbT3_lS7_S7_lS8_T4_lS7_S7_l.has_indirect_call, 0
	.section	.AMDGPU.csdata,"",@progbits
; Kernel info:
; codeLenInByte = 788
; TotalNumSgprs: 45
; NumVgprs: 18
; ScratchSize: 0
; MemoryBound: 0
; FloatMode: 240
; IeeeMode: 1
; LDSByteSize: 0 bytes/workgroup (compile time only)
; SGPRBlocks: 0
; VGPRBlocks: 1
; NumSGPRsForWavesPerEU: 45
; NumVGPRsForWavesPerEU: 18
; NamedBarCnt: 0
; Occupancy: 16
; WaveLimiterHint : 1
; COMPUTE_PGM_RSRC2:SCRATCH_EN: 0
; COMPUTE_PGM_RSRC2:USER_SGPR: 2
; COMPUTE_PGM_RSRC2:TRAP_HANDLER: 0
; COMPUTE_PGM_RSRC2:TGID_X_EN: 1
; COMPUTE_PGM_RSRC2:TGID_Y_EN: 1
; COMPUTE_PGM_RSRC2:TGID_Z_EN: 1
; COMPUTE_PGM_RSRC2:TIDIG_COMP_CNT: 1
	.section	.text._ZN9rocsolver6v33100L16mfma_gemm_kernelI19rocblas_complex_numIfElPKS3_PKPS3_S6_S8_EEv18rocblas_operation_S9_T0_SA_SA_T1_T2_lSA_SA_lT3_lSA_SA_lSB_T4_lSA_SA_l,"axG",@progbits,_ZN9rocsolver6v33100L16mfma_gemm_kernelI19rocblas_complex_numIfElPKS3_PKPS3_S6_S8_EEv18rocblas_operation_S9_T0_SA_SA_T1_T2_lSA_SA_lT3_lSA_SA_lSB_T4_lSA_SA_l,comdat
	.globl	_ZN9rocsolver6v33100L16mfma_gemm_kernelI19rocblas_complex_numIfElPKS3_PKPS3_S6_S8_EEv18rocblas_operation_S9_T0_SA_SA_T1_T2_lSA_SA_lT3_lSA_SA_lSB_T4_lSA_SA_l ; -- Begin function _ZN9rocsolver6v33100L16mfma_gemm_kernelI19rocblas_complex_numIfElPKS3_PKPS3_S6_S8_EEv18rocblas_operation_S9_T0_SA_SA_T1_T2_lSA_SA_lT3_lSA_SA_lSB_T4_lSA_SA_l
	.p2align	8
	.type	_ZN9rocsolver6v33100L16mfma_gemm_kernelI19rocblas_complex_numIfElPKS3_PKPS3_S6_S8_EEv18rocblas_operation_S9_T0_SA_SA_T1_T2_lSA_SA_lT3_lSA_SA_lSB_T4_lSA_SA_l,@function
_ZN9rocsolver6v33100L16mfma_gemm_kernelI19rocblas_complex_numIfElPKS3_PKPS3_S6_S8_EEv18rocblas_operation_S9_T0_SA_SA_T1_T2_lSA_SA_lT3_lSA_SA_lSB_T4_lSA_SA_l: ; @_ZN9rocsolver6v33100L16mfma_gemm_kernelI19rocblas_complex_numIfElPKS3_PKPS3_S6_S8_EEv18rocblas_operation_S9_T0_SA_SA_T1_T2_lSA_SA_lT3_lSA_SA_lSB_T4_lSA_SA_l
; %bb.0:
	s_endpgm
	.section	.rodata,"a",@progbits
	.p2align	6, 0x0
	.amdhsa_kernel _ZN9rocsolver6v33100L16mfma_gemm_kernelI19rocblas_complex_numIfElPKS3_PKPS3_S6_S8_EEv18rocblas_operation_S9_T0_SA_SA_T1_T2_lSA_SA_lT3_lSA_SA_lSB_T4_lSA_SA_l
		.amdhsa_group_segment_fixed_size 0
		.amdhsa_private_segment_fixed_size 0
		.amdhsa_kernarg_size 168
		.amdhsa_user_sgpr_count 2
		.amdhsa_user_sgpr_dispatch_ptr 0
		.amdhsa_user_sgpr_queue_ptr 0
		.amdhsa_user_sgpr_kernarg_segment_ptr 1
		.amdhsa_user_sgpr_dispatch_id 0
		.amdhsa_user_sgpr_kernarg_preload_length 0
		.amdhsa_user_sgpr_kernarg_preload_offset 0
		.amdhsa_user_sgpr_private_segment_size 0
		.amdhsa_wavefront_size32 1
		.amdhsa_uses_dynamic_stack 0
		.amdhsa_enable_private_segment 0
		.amdhsa_system_sgpr_workgroup_id_x 1
		.amdhsa_system_sgpr_workgroup_id_y 0
		.amdhsa_system_sgpr_workgroup_id_z 0
		.amdhsa_system_sgpr_workgroup_info 0
		.amdhsa_system_vgpr_workitem_id 0
		.amdhsa_next_free_vgpr 1
		.amdhsa_next_free_sgpr 1
		.amdhsa_named_barrier_count 0
		.amdhsa_reserve_vcc 0
		.amdhsa_float_round_mode_32 0
		.amdhsa_float_round_mode_16_64 0
		.amdhsa_float_denorm_mode_32 3
		.amdhsa_float_denorm_mode_16_64 3
		.amdhsa_fp16_overflow 0
		.amdhsa_memory_ordered 1
		.amdhsa_forward_progress 1
		.amdhsa_inst_pref_size 1
		.amdhsa_round_robin_scheduling 0
		.amdhsa_exception_fp_ieee_invalid_op 0
		.amdhsa_exception_fp_denorm_src 0
		.amdhsa_exception_fp_ieee_div_zero 0
		.amdhsa_exception_fp_ieee_overflow 0
		.amdhsa_exception_fp_ieee_underflow 0
		.amdhsa_exception_fp_ieee_inexact 0
		.amdhsa_exception_int_div_zero 0
	.end_amdhsa_kernel
	.section	.text._ZN9rocsolver6v33100L16mfma_gemm_kernelI19rocblas_complex_numIfElPKS3_PKPS3_S6_S8_EEv18rocblas_operation_S9_T0_SA_SA_T1_T2_lSA_SA_lT3_lSA_SA_lSB_T4_lSA_SA_l,"axG",@progbits,_ZN9rocsolver6v33100L16mfma_gemm_kernelI19rocblas_complex_numIfElPKS3_PKPS3_S6_S8_EEv18rocblas_operation_S9_T0_SA_SA_T1_T2_lSA_SA_lT3_lSA_SA_lSB_T4_lSA_SA_l,comdat
.Lfunc_end46:
	.size	_ZN9rocsolver6v33100L16mfma_gemm_kernelI19rocblas_complex_numIfElPKS3_PKPS3_S6_S8_EEv18rocblas_operation_S9_T0_SA_SA_T1_T2_lSA_SA_lT3_lSA_SA_lSB_T4_lSA_SA_l, .Lfunc_end46-_ZN9rocsolver6v33100L16mfma_gemm_kernelI19rocblas_complex_numIfElPKS3_PKPS3_S6_S8_EEv18rocblas_operation_S9_T0_SA_SA_T1_T2_lSA_SA_lT3_lSA_SA_lSB_T4_lSA_SA_l
                                        ; -- End function
	.set _ZN9rocsolver6v33100L16mfma_gemm_kernelI19rocblas_complex_numIfElPKS3_PKPS3_S6_S8_EEv18rocblas_operation_S9_T0_SA_SA_T1_T2_lSA_SA_lT3_lSA_SA_lSB_T4_lSA_SA_l.num_vgpr, 0
	.set _ZN9rocsolver6v33100L16mfma_gemm_kernelI19rocblas_complex_numIfElPKS3_PKPS3_S6_S8_EEv18rocblas_operation_S9_T0_SA_SA_T1_T2_lSA_SA_lT3_lSA_SA_lSB_T4_lSA_SA_l.num_agpr, 0
	.set _ZN9rocsolver6v33100L16mfma_gemm_kernelI19rocblas_complex_numIfElPKS3_PKPS3_S6_S8_EEv18rocblas_operation_S9_T0_SA_SA_T1_T2_lSA_SA_lT3_lSA_SA_lSB_T4_lSA_SA_l.numbered_sgpr, 0
	.set _ZN9rocsolver6v33100L16mfma_gemm_kernelI19rocblas_complex_numIfElPKS3_PKPS3_S6_S8_EEv18rocblas_operation_S9_T0_SA_SA_T1_T2_lSA_SA_lT3_lSA_SA_lSB_T4_lSA_SA_l.num_named_barrier, 0
	.set _ZN9rocsolver6v33100L16mfma_gemm_kernelI19rocblas_complex_numIfElPKS3_PKPS3_S6_S8_EEv18rocblas_operation_S9_T0_SA_SA_T1_T2_lSA_SA_lT3_lSA_SA_lSB_T4_lSA_SA_l.private_seg_size, 0
	.set _ZN9rocsolver6v33100L16mfma_gemm_kernelI19rocblas_complex_numIfElPKS3_PKPS3_S6_S8_EEv18rocblas_operation_S9_T0_SA_SA_T1_T2_lSA_SA_lT3_lSA_SA_lSB_T4_lSA_SA_l.uses_vcc, 0
	.set _ZN9rocsolver6v33100L16mfma_gemm_kernelI19rocblas_complex_numIfElPKS3_PKPS3_S6_S8_EEv18rocblas_operation_S9_T0_SA_SA_T1_T2_lSA_SA_lT3_lSA_SA_lSB_T4_lSA_SA_l.uses_flat_scratch, 0
	.set _ZN9rocsolver6v33100L16mfma_gemm_kernelI19rocblas_complex_numIfElPKS3_PKPS3_S6_S8_EEv18rocblas_operation_S9_T0_SA_SA_T1_T2_lSA_SA_lT3_lSA_SA_lSB_T4_lSA_SA_l.has_dyn_sized_stack, 0
	.set _ZN9rocsolver6v33100L16mfma_gemm_kernelI19rocblas_complex_numIfElPKS3_PKPS3_S6_S8_EEv18rocblas_operation_S9_T0_SA_SA_T1_T2_lSA_SA_lT3_lSA_SA_lSB_T4_lSA_SA_l.has_recursion, 0
	.set _ZN9rocsolver6v33100L16mfma_gemm_kernelI19rocblas_complex_numIfElPKS3_PKPS3_S6_S8_EEv18rocblas_operation_S9_T0_SA_SA_T1_T2_lSA_SA_lT3_lSA_SA_lSB_T4_lSA_SA_l.has_indirect_call, 0
	.section	.AMDGPU.csdata,"",@progbits
; Kernel info:
; codeLenInByte = 4
; TotalNumSgprs: 0
; NumVgprs: 0
; ScratchSize: 0
; MemoryBound: 0
; FloatMode: 240
; IeeeMode: 1
; LDSByteSize: 0 bytes/workgroup (compile time only)
; SGPRBlocks: 0
; VGPRBlocks: 0
; NumSGPRsForWavesPerEU: 1
; NumVGPRsForWavesPerEU: 1
; NamedBarCnt: 0
; Occupancy: 16
; WaveLimiterHint : 0
; COMPUTE_PGM_RSRC2:SCRATCH_EN: 0
; COMPUTE_PGM_RSRC2:USER_SGPR: 2
; COMPUTE_PGM_RSRC2:TRAP_HANDLER: 0
; COMPUTE_PGM_RSRC2:TGID_X_EN: 1
; COMPUTE_PGM_RSRC2:TGID_Y_EN: 0
; COMPUTE_PGM_RSRC2:TGID_Z_EN: 0
; COMPUTE_PGM_RSRC2:TIDIG_COMP_CNT: 0
	.section	.text._ZN9rocsolver6v33100L16mfma_gemm_kernelI19rocblas_complex_numIfElS3_PKPS3_S4_S6_EEv18rocblas_operation_S7_T0_S8_S8_T1_T2_lS8_S8_lT3_lS8_S8_lS9_T4_lS8_S8_l,"axG",@progbits,_ZN9rocsolver6v33100L16mfma_gemm_kernelI19rocblas_complex_numIfElS3_PKPS3_S4_S6_EEv18rocblas_operation_S7_T0_S8_S8_T1_T2_lS8_S8_lT3_lS8_S8_lS9_T4_lS8_S8_l,comdat
	.globl	_ZN9rocsolver6v33100L16mfma_gemm_kernelI19rocblas_complex_numIfElS3_PKPS3_S4_S6_EEv18rocblas_operation_S7_T0_S8_S8_T1_T2_lS8_S8_lT3_lS8_S8_lS9_T4_lS8_S8_l ; -- Begin function _ZN9rocsolver6v33100L16mfma_gemm_kernelI19rocblas_complex_numIfElS3_PKPS3_S4_S6_EEv18rocblas_operation_S7_T0_S8_S8_T1_T2_lS8_S8_lT3_lS8_S8_lS9_T4_lS8_S8_l
	.p2align	8
	.type	_ZN9rocsolver6v33100L16mfma_gemm_kernelI19rocblas_complex_numIfElS3_PKPS3_S4_S6_EEv18rocblas_operation_S7_T0_S8_S8_T1_T2_lS8_S8_lT3_lS8_S8_lS9_T4_lS8_S8_l,@function
_ZN9rocsolver6v33100L16mfma_gemm_kernelI19rocblas_complex_numIfElS3_PKPS3_S4_S6_EEv18rocblas_operation_S7_T0_S8_S8_T1_T2_lS8_S8_lT3_lS8_S8_lS9_T4_lS8_S8_l: ; @_ZN9rocsolver6v33100L16mfma_gemm_kernelI19rocblas_complex_numIfElS3_PKPS3_S4_S6_EEv18rocblas_operation_S7_T0_S8_S8_T1_T2_lS8_S8_lT3_lS8_S8_lS9_T4_lS8_S8_l
; %bb.0:
	s_endpgm
	.section	.rodata,"a",@progbits
	.p2align	6, 0x0
	.amdhsa_kernel _ZN9rocsolver6v33100L16mfma_gemm_kernelI19rocblas_complex_numIfElS3_PKPS3_S4_S6_EEv18rocblas_operation_S7_T0_S8_S8_T1_T2_lS8_S8_lT3_lS8_S8_lS9_T4_lS8_S8_l
		.amdhsa_group_segment_fixed_size 0
		.amdhsa_private_segment_fixed_size 0
		.amdhsa_kernarg_size 168
		.amdhsa_user_sgpr_count 2
		.amdhsa_user_sgpr_dispatch_ptr 0
		.amdhsa_user_sgpr_queue_ptr 0
		.amdhsa_user_sgpr_kernarg_segment_ptr 1
		.amdhsa_user_sgpr_dispatch_id 0
		.amdhsa_user_sgpr_kernarg_preload_length 0
		.amdhsa_user_sgpr_kernarg_preload_offset 0
		.amdhsa_user_sgpr_private_segment_size 0
		.amdhsa_wavefront_size32 1
		.amdhsa_uses_dynamic_stack 0
		.amdhsa_enable_private_segment 0
		.amdhsa_system_sgpr_workgroup_id_x 1
		.amdhsa_system_sgpr_workgroup_id_y 0
		.amdhsa_system_sgpr_workgroup_id_z 0
		.amdhsa_system_sgpr_workgroup_info 0
		.amdhsa_system_vgpr_workitem_id 0
		.amdhsa_next_free_vgpr 1
		.amdhsa_next_free_sgpr 1
		.amdhsa_named_barrier_count 0
		.amdhsa_reserve_vcc 0
		.amdhsa_float_round_mode_32 0
		.amdhsa_float_round_mode_16_64 0
		.amdhsa_float_denorm_mode_32 3
		.amdhsa_float_denorm_mode_16_64 3
		.amdhsa_fp16_overflow 0
		.amdhsa_memory_ordered 1
		.amdhsa_forward_progress 1
		.amdhsa_inst_pref_size 1
		.amdhsa_round_robin_scheduling 0
		.amdhsa_exception_fp_ieee_invalid_op 0
		.amdhsa_exception_fp_denorm_src 0
		.amdhsa_exception_fp_ieee_div_zero 0
		.amdhsa_exception_fp_ieee_overflow 0
		.amdhsa_exception_fp_ieee_underflow 0
		.amdhsa_exception_fp_ieee_inexact 0
		.amdhsa_exception_int_div_zero 0
	.end_amdhsa_kernel
	.section	.text._ZN9rocsolver6v33100L16mfma_gemm_kernelI19rocblas_complex_numIfElS3_PKPS3_S4_S6_EEv18rocblas_operation_S7_T0_S8_S8_T1_T2_lS8_S8_lT3_lS8_S8_lS9_T4_lS8_S8_l,"axG",@progbits,_ZN9rocsolver6v33100L16mfma_gemm_kernelI19rocblas_complex_numIfElS3_PKPS3_S4_S6_EEv18rocblas_operation_S7_T0_S8_S8_T1_T2_lS8_S8_lT3_lS8_S8_lS9_T4_lS8_S8_l,comdat
.Lfunc_end47:
	.size	_ZN9rocsolver6v33100L16mfma_gemm_kernelI19rocblas_complex_numIfElS3_PKPS3_S4_S6_EEv18rocblas_operation_S7_T0_S8_S8_T1_T2_lS8_S8_lT3_lS8_S8_lS9_T4_lS8_S8_l, .Lfunc_end47-_ZN9rocsolver6v33100L16mfma_gemm_kernelI19rocblas_complex_numIfElS3_PKPS3_S4_S6_EEv18rocblas_operation_S7_T0_S8_S8_T1_T2_lS8_S8_lT3_lS8_S8_lS9_T4_lS8_S8_l
                                        ; -- End function
	.set _ZN9rocsolver6v33100L16mfma_gemm_kernelI19rocblas_complex_numIfElS3_PKPS3_S4_S6_EEv18rocblas_operation_S7_T0_S8_S8_T1_T2_lS8_S8_lT3_lS8_S8_lS9_T4_lS8_S8_l.num_vgpr, 0
	.set _ZN9rocsolver6v33100L16mfma_gemm_kernelI19rocblas_complex_numIfElS3_PKPS3_S4_S6_EEv18rocblas_operation_S7_T0_S8_S8_T1_T2_lS8_S8_lT3_lS8_S8_lS9_T4_lS8_S8_l.num_agpr, 0
	.set _ZN9rocsolver6v33100L16mfma_gemm_kernelI19rocblas_complex_numIfElS3_PKPS3_S4_S6_EEv18rocblas_operation_S7_T0_S8_S8_T1_T2_lS8_S8_lT3_lS8_S8_lS9_T4_lS8_S8_l.numbered_sgpr, 0
	.set _ZN9rocsolver6v33100L16mfma_gemm_kernelI19rocblas_complex_numIfElS3_PKPS3_S4_S6_EEv18rocblas_operation_S7_T0_S8_S8_T1_T2_lS8_S8_lT3_lS8_S8_lS9_T4_lS8_S8_l.num_named_barrier, 0
	.set _ZN9rocsolver6v33100L16mfma_gemm_kernelI19rocblas_complex_numIfElS3_PKPS3_S4_S6_EEv18rocblas_operation_S7_T0_S8_S8_T1_T2_lS8_S8_lT3_lS8_S8_lS9_T4_lS8_S8_l.private_seg_size, 0
	.set _ZN9rocsolver6v33100L16mfma_gemm_kernelI19rocblas_complex_numIfElS3_PKPS3_S4_S6_EEv18rocblas_operation_S7_T0_S8_S8_T1_T2_lS8_S8_lT3_lS8_S8_lS9_T4_lS8_S8_l.uses_vcc, 0
	.set _ZN9rocsolver6v33100L16mfma_gemm_kernelI19rocblas_complex_numIfElS3_PKPS3_S4_S6_EEv18rocblas_operation_S7_T0_S8_S8_T1_T2_lS8_S8_lT3_lS8_S8_lS9_T4_lS8_S8_l.uses_flat_scratch, 0
	.set _ZN9rocsolver6v33100L16mfma_gemm_kernelI19rocblas_complex_numIfElS3_PKPS3_S4_S6_EEv18rocblas_operation_S7_T0_S8_S8_T1_T2_lS8_S8_lT3_lS8_S8_lS9_T4_lS8_S8_l.has_dyn_sized_stack, 0
	.set _ZN9rocsolver6v33100L16mfma_gemm_kernelI19rocblas_complex_numIfElS3_PKPS3_S4_S6_EEv18rocblas_operation_S7_T0_S8_S8_T1_T2_lS8_S8_lT3_lS8_S8_lS9_T4_lS8_S8_l.has_recursion, 0
	.set _ZN9rocsolver6v33100L16mfma_gemm_kernelI19rocblas_complex_numIfElS3_PKPS3_S4_S6_EEv18rocblas_operation_S7_T0_S8_S8_T1_T2_lS8_S8_lT3_lS8_S8_lS9_T4_lS8_S8_l.has_indirect_call, 0
	.section	.AMDGPU.csdata,"",@progbits
; Kernel info:
; codeLenInByte = 4
; TotalNumSgprs: 0
; NumVgprs: 0
; ScratchSize: 0
; MemoryBound: 0
; FloatMode: 240
; IeeeMode: 1
; LDSByteSize: 0 bytes/workgroup (compile time only)
; SGPRBlocks: 0
; VGPRBlocks: 0
; NumSGPRsForWavesPerEU: 1
; NumVGPRsForWavesPerEU: 1
; NamedBarCnt: 0
; Occupancy: 16
; WaveLimiterHint : 0
; COMPUTE_PGM_RSRC2:SCRATCH_EN: 0
; COMPUTE_PGM_RSRC2:USER_SGPR: 2
; COMPUTE_PGM_RSRC2:TRAP_HANDLER: 0
; COMPUTE_PGM_RSRC2:TGID_X_EN: 1
; COMPUTE_PGM_RSRC2:TGID_Y_EN: 0
; COMPUTE_PGM_RSRC2:TGID_Z_EN: 0
; COMPUTE_PGM_RSRC2:TIDIG_COMP_CNT: 0
	.section	.text._ZN9rocsolver6v33100L11gemm_kernelI19rocblas_complex_numIfElPKS3_PKPS3_S6_S8_EEvT0_S9_S9_T1_bT2_lS9_S9_lbT3_lS9_S9_lSA_T4_lS9_S9_l,"axG",@progbits,_ZN9rocsolver6v33100L11gemm_kernelI19rocblas_complex_numIfElPKS3_PKPS3_S6_S8_EEvT0_S9_S9_T1_bT2_lS9_S9_lbT3_lS9_S9_lSA_T4_lS9_S9_l,comdat
	.globl	_ZN9rocsolver6v33100L11gemm_kernelI19rocblas_complex_numIfElPKS3_PKPS3_S6_S8_EEvT0_S9_S9_T1_bT2_lS9_S9_lbT3_lS9_S9_lSA_T4_lS9_S9_l ; -- Begin function _ZN9rocsolver6v33100L11gemm_kernelI19rocblas_complex_numIfElPKS3_PKPS3_S6_S8_EEvT0_S9_S9_T1_bT2_lS9_S9_lbT3_lS9_S9_lSA_T4_lS9_S9_l
	.p2align	8
	.type	_ZN9rocsolver6v33100L11gemm_kernelI19rocblas_complex_numIfElPKS3_PKPS3_S6_S8_EEvT0_S9_S9_T1_bT2_lS9_S9_lbT3_lS9_S9_lSA_T4_lS9_S9_l,@function
_ZN9rocsolver6v33100L11gemm_kernelI19rocblas_complex_numIfElPKS3_PKPS3_S6_S8_EEvT0_S9_S9_T1_bT2_lS9_S9_lbT3_lS9_S9_lSA_T4_lS9_S9_l: ; @_ZN9rocsolver6v33100L11gemm_kernelI19rocblas_complex_numIfElPKS3_PKPS3_S6_S8_EEvT0_S9_S9_T1_bT2_lS9_S9_lbT3_lS9_S9_lSA_T4_lS9_S9_l
; %bb.0:
	s_load_b32 s2, s[0:1], 0xbc
	s_bfe_u32 s4, ttmp6, 0x40010
	s_bfe_u32 s7, ttmp6, 0x4000c
	s_and_b32 s3, ttmp7, 0xffff
	s_add_co_i32 s4, s4, 1
	s_add_co_i32 s7, s7, 1
	s_bfe_u32 s5, ttmp6, 0x40004
	s_and_b32 s6, ttmp6, 15
	s_mul_i32 s4, s3, s4
	s_mul_i32 s7, ttmp9, s7
	s_getreg_b32 s24, hwreg(HW_REG_IB_STS2, 6, 4)
	v_mov_b32_e32 v5, 0
	v_and_b32_e32 v4, 0x3ff, v0
	s_add_co_i32 s5, s5, s4
	s_add_co_i32 s6, s6, s7
	s_load_b256 s[16:23], s[0:1], 0x0
	s_mov_b32 s37, 0
	s_wait_kmcnt 0x0
	s_lshr_b32 s4, s2, 16
	s_and_b32 s2, s2, 0xffff
	s_cmp_eq_u32 s24, 0
	s_cselect_b32 s6, ttmp9, s6
	s_delay_alu instid0(SALU_CYCLE_1)
	v_mad_nc_u64_u32 v[2:3], s2, s6, v[4:5]
	v_bfe_u32 v4, v0, 10, 10
	s_cselect_b32 s2, s3, s5
	s_delay_alu instid0(VALU_DEP_1) | instid1(SALU_CYCLE_1)
	v_mad_nc_u64_u32 v[0:1], s4, s2, v[4:5]
	s_delay_alu instid0(VALU_DEP_3) | instskip(NEXT) | instid1(VALU_DEP_2)
	v_cmp_gt_i64_e32 vcc_lo, s[16:17], v[2:3]
	v_cmp_gt_i64_e64 s2, s[18:19], v[0:1]
	s_and_b32 s2, vcc_lo, s2
	s_delay_alu instid0(SALU_CYCLE_1)
	s_and_saveexec_b32 s3, s2
	s_cbranch_execz .LBB48_9
; %bb.1:
	s_load_b512 s[4:19], s[0:1], 0x58
	s_load_b64 s[34:35], s[22:23], 0x0
	s_wait_xcnt 0x0
	v_cmp_lt_i64_e64 s22, s[20:21], 1
	s_bfe_u32 s23, ttmp6, 0x40008
	v_mov_b32_e32 v4, 0
	s_wait_kmcnt 0x0
	s_load_b64 s[2:3], s[14:15], 0x0
	s_wait_xcnt 0x0
	s_bfe_u32 s14, ttmp6, 0x40014
	s_lshr_b32 s15, ttmp7, 16
	s_add_co_i32 s14, s14, 1
	s_delay_alu instid0(SALU_CYCLE_1) | instskip(NEXT) | instid1(SALU_CYCLE_1)
	s_mul_i32 s14, s15, s14
	s_add_co_i32 s23, s23, s14
	s_cmp_eq_u32 s24, 0
	s_cselect_b32 s36, s15, s23
	s_and_b32 vcc_lo, exec_lo, s22
	s_cbranch_vccnz .LBB48_8
; %bb.2:
	s_clause 0x1
	s_load_b256 s[24:31], s[0:1], 0x28
	s_load_b32 s22, s[0:1], 0x20
	v_mul_u64_e32 v[6:7], s[10:11], v[0:1]
	s_mul_u64 s[12:13], s[12:13], s[36:37]
	s_load_b32 s11, s[0:1], 0x50
	s_wait_kmcnt 0x0
	s_load_b64 s[14:15], s[24:25], s36 offset:0x0 scale_offset
	v_mul_u64_e32 v[4:5], s[28:29], v[2:3]
	s_bitcmp1_b32 s22, 0
	s_cselect_b32 s10, -1, 0
	s_delay_alu instid0(SALU_CYCLE_1)
	s_xor_b32 s10, s10, -1
	s_bitcmp1_b32 s11, 0
	s_cselect_b32 s11, -1, 0
	s_lshl_b64 s[6:7], s[6:7], 3
	s_lshl_b64 s[22:23], s[26:27], 3
	;; [unrolled: 1-line block ×3, first 2 shown]
	s_add_nc_u64 s[4:5], s[4:5], s[6:7]
	s_wait_kmcnt 0x0
	s_add_nc_u64 s[6:7], s[14:15], s[22:23]
	s_add_nc_u64 s[4:5], s[4:5], s[12:13]
	s_delay_alu instid0(VALU_DEP_2) | instid1(SALU_CYCLE_1)
	v_lshl_add_u64 v[8:9], v[6:7], 3, s[4:5]
	s_lshl_b64 s[4:5], s[30:31], 3
	s_delay_alu instid0(VALU_DEP_2) | instskip(NEXT) | instid1(VALU_DEP_2)
	v_lshl_add_u64 v[4:5], v[4:5], 3, s[6:7]
	v_add_nc_u64_e32 v[8:9], 4, v[8:9]
	s_lshl_b64 s[6:7], s[8:9], 3
	s_delay_alu instid0(VALU_DEP_2)
	v_add_nc_u64_e32 v[6:7], 4, v[4:5]
	v_dual_mov_b32 v5, 0 :: v_dual_mov_b32 v4, 0
	s_branch .LBB48_4
.LBB48_3:                               ;   in Loop: Header=BB48_4 Depth=1
	global_load_b64 v[12:13], v[8:9], off offset:-4
	s_wait_xcnt 0x1
	v_add_nc_u64_e32 v[6:7], s[4:5], v[6:7]
	s_wait_xcnt 0x0
	v_add_nc_u64_e32 v[8:9], s[6:7], v[8:9]
	s_add_nc_u64 s[20:21], s[20:21], -1
	s_delay_alu instid0(SALU_CYCLE_1) | instskip(SKIP_2) | instid1(VALU_DEP_1)
	s_cmp_eq_u64 s[20:21], 0
	s_wait_loadcnt_dscnt 0x0
	v_dual_cndmask_b32 v13, v13, -v13, s11 :: v_dual_mul_f32 v14, v11, v12
	v_dual_mul_f32 v11, v11, v13 :: v_dual_fmac_f32 v14, v13, v10
	s_delay_alu instid0(VALU_DEP_1) | instskip(NEXT) | instid1(VALU_DEP_2)
	v_fma_f32 v10, v12, v10, -v11
	v_add_f32_e32 v5, v5, v14
	s_delay_alu instid0(VALU_DEP_2)
	v_add_f32_e32 v4, v4, v10
	s_cbranch_scc1 .LBB48_8
.LBB48_4:                               ; =>This Inner Loop Header: Depth=1
	s_and_b32 vcc_lo, exec_lo, s10
	s_mov_b32 s8, -1
                                        ; implicit-def: $vgpr11
	s_cbranch_vccz .LBB48_6
; %bb.5:                                ;   in Loop: Header=BB48_4 Depth=1
	flat_load_b64 v[10:11], v[6:7] offset:-4
	s_mov_b32 s8, 0
.LBB48_6:                               ;   in Loop: Header=BB48_4 Depth=1
	s_delay_alu instid0(SALU_CYCLE_1)
	s_and_not1_b32 vcc_lo, exec_lo, s8
	s_cbranch_vccnz .LBB48_3
; %bb.7:                                ;   in Loop: Header=BB48_4 Depth=1
	s_wait_loadcnt_dscnt 0x0
	flat_load_b64 v[10:11], v[6:7] offset:-4
	s_wait_loadcnt_dscnt 0x0
	v_xor_b32_e32 v11, 0x80000000, v11
	s_branch .LBB48_3
.LBB48_8:
	s_load_b64 s[4:5], s[16:17], s36 offset:0x0 scale_offset
	s_load_b128 s[8:11], s[0:1], 0x98
	s_wait_xcnt 0x0
	s_lshl_b64 s[0:1], s[18:19], 3
	v_mov_b64_e32 v[8:9], s[34:35]
	s_wait_kmcnt 0x0
	v_mov_b64_e32 v[10:11], s[2:3]
	v_mov_b32_e32 v6, v5
	s_delay_alu instid0(VALU_DEP_1) | instskip(NEXT) | instid1(VALU_DEP_1)
	v_pk_mul_f32 v[6:7], v[8:9], v[6:7] op_sel:[1,0] op_sel_hi:[0,0]
	v_pk_fma_f32 v[14:15], v[8:9], v[4:5], v[6:7] op_sel_hi:[1,0,1]
	v_pk_fma_f32 v[4:5], v[8:9], v[4:5], v[6:7] neg_lo:[0,0,1] neg_hi:[0,0,1]
	s_delay_alu instid0(VALU_DEP_2)
	v_mov_b32_e32 v5, v15
	v_mul_u64_e32 v[2:3], s[8:9], v[2:3]
	v_mul_u64_e32 v[0:1], s[10:11], v[0:1]
	s_add_nc_u64 s[0:1], s[4:5], s[0:1]
	s_delay_alu instid0(VALU_DEP_2) | instid1(SALU_CYCLE_1)
	v_lshl_add_u64 v[2:3], v[2:3], 3, s[0:1]
	s_delay_alu instid0(VALU_DEP_1) | instskip(SKIP_3) | instid1(VALU_DEP_1)
	v_lshl_add_u64 v[0:1], v[0:1], 3, v[2:3]
	flat_load_b64 v[2:3], v[0:1]
	s_wait_loadcnt_dscnt 0x0
	v_pk_mul_f32 v[12:13], v[10:11], v[2:3] op_sel:[1,1] op_sel_hi:[0,1]
	v_pk_fma_f32 v[16:17], v[10:11], v[2:3], v[12:13] op_sel_hi:[1,0,1]
	v_pk_fma_f32 v[2:3], v[10:11], v[2:3], v[12:13] neg_lo:[0,0,1] neg_hi:[0,0,1]
	s_delay_alu instid0(VALU_DEP_2) | instskip(NEXT) | instid1(VALU_DEP_1)
	v_mov_b32_e32 v3, v17
	v_pk_add_f32 v[2:3], v[4:5], v[2:3]
	flat_store_b64 v[0:1], v[2:3]
.LBB48_9:
	s_endpgm
	.section	.rodata,"a",@progbits
	.p2align	6, 0x0
	.amdhsa_kernel _ZN9rocsolver6v33100L11gemm_kernelI19rocblas_complex_numIfElPKS3_PKPS3_S6_S8_EEvT0_S9_S9_T1_bT2_lS9_S9_lbT3_lS9_S9_lSA_T4_lS9_S9_l
		.amdhsa_group_segment_fixed_size 0
		.amdhsa_private_segment_fixed_size 0
		.amdhsa_kernarg_size 432
		.amdhsa_user_sgpr_count 2
		.amdhsa_user_sgpr_dispatch_ptr 0
		.amdhsa_user_sgpr_queue_ptr 0
		.amdhsa_user_sgpr_kernarg_segment_ptr 1
		.amdhsa_user_sgpr_dispatch_id 0
		.amdhsa_user_sgpr_kernarg_preload_length 0
		.amdhsa_user_sgpr_kernarg_preload_offset 0
		.amdhsa_user_sgpr_private_segment_size 0
		.amdhsa_wavefront_size32 1
		.amdhsa_uses_dynamic_stack 0
		.amdhsa_enable_private_segment 0
		.amdhsa_system_sgpr_workgroup_id_x 1
		.amdhsa_system_sgpr_workgroup_id_y 1
		.amdhsa_system_sgpr_workgroup_id_z 1
		.amdhsa_system_sgpr_workgroup_info 0
		.amdhsa_system_vgpr_workitem_id 1
		.amdhsa_next_free_vgpr 18
		.amdhsa_next_free_sgpr 38
		.amdhsa_named_barrier_count 0
		.amdhsa_reserve_vcc 1
		.amdhsa_float_round_mode_32 0
		.amdhsa_float_round_mode_16_64 0
		.amdhsa_float_denorm_mode_32 3
		.amdhsa_float_denorm_mode_16_64 3
		.amdhsa_fp16_overflow 0
		.amdhsa_memory_ordered 1
		.amdhsa_forward_progress 1
		.amdhsa_inst_pref_size 7
		.amdhsa_round_robin_scheduling 0
		.amdhsa_exception_fp_ieee_invalid_op 0
		.amdhsa_exception_fp_denorm_src 0
		.amdhsa_exception_fp_ieee_div_zero 0
		.amdhsa_exception_fp_ieee_overflow 0
		.amdhsa_exception_fp_ieee_underflow 0
		.amdhsa_exception_fp_ieee_inexact 0
		.amdhsa_exception_int_div_zero 0
	.end_amdhsa_kernel
	.section	.text._ZN9rocsolver6v33100L11gemm_kernelI19rocblas_complex_numIfElPKS3_PKPS3_S6_S8_EEvT0_S9_S9_T1_bT2_lS9_S9_lbT3_lS9_S9_lSA_T4_lS9_S9_l,"axG",@progbits,_ZN9rocsolver6v33100L11gemm_kernelI19rocblas_complex_numIfElPKS3_PKPS3_S6_S8_EEvT0_S9_S9_T1_bT2_lS9_S9_lbT3_lS9_S9_lSA_T4_lS9_S9_l,comdat
.Lfunc_end48:
	.size	_ZN9rocsolver6v33100L11gemm_kernelI19rocblas_complex_numIfElPKS3_PKPS3_S6_S8_EEvT0_S9_S9_T1_bT2_lS9_S9_lbT3_lS9_S9_lSA_T4_lS9_S9_l, .Lfunc_end48-_ZN9rocsolver6v33100L11gemm_kernelI19rocblas_complex_numIfElPKS3_PKPS3_S6_S8_EEvT0_S9_S9_T1_bT2_lS9_S9_lbT3_lS9_S9_lSA_T4_lS9_S9_l
                                        ; -- End function
	.set _ZN9rocsolver6v33100L11gemm_kernelI19rocblas_complex_numIfElPKS3_PKPS3_S6_S8_EEvT0_S9_S9_T1_bT2_lS9_S9_lbT3_lS9_S9_lSA_T4_lS9_S9_l.num_vgpr, 18
	.set _ZN9rocsolver6v33100L11gemm_kernelI19rocblas_complex_numIfElPKS3_PKPS3_S6_S8_EEvT0_S9_S9_T1_bT2_lS9_S9_lbT3_lS9_S9_lSA_T4_lS9_S9_l.num_agpr, 0
	.set _ZN9rocsolver6v33100L11gemm_kernelI19rocblas_complex_numIfElPKS3_PKPS3_S6_S8_EEvT0_S9_S9_T1_bT2_lS9_S9_lbT3_lS9_S9_lSA_T4_lS9_S9_l.numbered_sgpr, 38
	.set _ZN9rocsolver6v33100L11gemm_kernelI19rocblas_complex_numIfElPKS3_PKPS3_S6_S8_EEvT0_S9_S9_T1_bT2_lS9_S9_lbT3_lS9_S9_lSA_T4_lS9_S9_l.num_named_barrier, 0
	.set _ZN9rocsolver6v33100L11gemm_kernelI19rocblas_complex_numIfElPKS3_PKPS3_S6_S8_EEvT0_S9_S9_T1_bT2_lS9_S9_lbT3_lS9_S9_lSA_T4_lS9_S9_l.private_seg_size, 0
	.set _ZN9rocsolver6v33100L11gemm_kernelI19rocblas_complex_numIfElPKS3_PKPS3_S6_S8_EEvT0_S9_S9_T1_bT2_lS9_S9_lbT3_lS9_S9_lSA_T4_lS9_S9_l.uses_vcc, 1
	.set _ZN9rocsolver6v33100L11gemm_kernelI19rocblas_complex_numIfElPKS3_PKPS3_S6_S8_EEvT0_S9_S9_T1_bT2_lS9_S9_lbT3_lS9_S9_lSA_T4_lS9_S9_l.uses_flat_scratch, 0
	.set _ZN9rocsolver6v33100L11gemm_kernelI19rocblas_complex_numIfElPKS3_PKPS3_S6_S8_EEvT0_S9_S9_T1_bT2_lS9_S9_lbT3_lS9_S9_lSA_T4_lS9_S9_l.has_dyn_sized_stack, 0
	.set _ZN9rocsolver6v33100L11gemm_kernelI19rocblas_complex_numIfElPKS3_PKPS3_S6_S8_EEvT0_S9_S9_T1_bT2_lS9_S9_lbT3_lS9_S9_lSA_T4_lS9_S9_l.has_recursion, 0
	.set _ZN9rocsolver6v33100L11gemm_kernelI19rocblas_complex_numIfElPKS3_PKPS3_S6_S8_EEvT0_S9_S9_T1_bT2_lS9_S9_lbT3_lS9_S9_lSA_T4_lS9_S9_l.has_indirect_call, 0
	.section	.AMDGPU.csdata,"",@progbits
; Kernel info:
; codeLenInByte = 796
; TotalNumSgprs: 40
; NumVgprs: 18
; ScratchSize: 0
; MemoryBound: 0
; FloatMode: 240
; IeeeMode: 1
; LDSByteSize: 0 bytes/workgroup (compile time only)
; SGPRBlocks: 0
; VGPRBlocks: 1
; NumSGPRsForWavesPerEU: 40
; NumVGPRsForWavesPerEU: 18
; NamedBarCnt: 0
; Occupancy: 16
; WaveLimiterHint : 1
; COMPUTE_PGM_RSRC2:SCRATCH_EN: 0
; COMPUTE_PGM_RSRC2:USER_SGPR: 2
; COMPUTE_PGM_RSRC2:TRAP_HANDLER: 0
; COMPUTE_PGM_RSRC2:TGID_X_EN: 1
; COMPUTE_PGM_RSRC2:TGID_Y_EN: 1
; COMPUTE_PGM_RSRC2:TGID_Z_EN: 1
; COMPUTE_PGM_RSRC2:TIDIG_COMP_CNT: 1
	.section	.text._ZN9rocsolver6v33100L11gemm_kernelI19rocblas_complex_numIfElS3_PKPS3_S4_S6_EEvT0_S7_S7_T1_bT2_lS7_S7_lbT3_lS7_S7_lS8_T4_lS7_S7_l,"axG",@progbits,_ZN9rocsolver6v33100L11gemm_kernelI19rocblas_complex_numIfElS3_PKPS3_S4_S6_EEvT0_S7_S7_T1_bT2_lS7_S7_lbT3_lS7_S7_lS8_T4_lS7_S7_l,comdat
	.globl	_ZN9rocsolver6v33100L11gemm_kernelI19rocblas_complex_numIfElS3_PKPS3_S4_S6_EEvT0_S7_S7_T1_bT2_lS7_S7_lbT3_lS7_S7_lS8_T4_lS7_S7_l ; -- Begin function _ZN9rocsolver6v33100L11gemm_kernelI19rocblas_complex_numIfElS3_PKPS3_S4_S6_EEvT0_S7_S7_T1_bT2_lS7_S7_lbT3_lS7_S7_lS8_T4_lS7_S7_l
	.p2align	8
	.type	_ZN9rocsolver6v33100L11gemm_kernelI19rocblas_complex_numIfElS3_PKPS3_S4_S6_EEvT0_S7_S7_T1_bT2_lS7_S7_lbT3_lS7_S7_lS8_T4_lS7_S7_l,@function
_ZN9rocsolver6v33100L11gemm_kernelI19rocblas_complex_numIfElS3_PKPS3_S4_S6_EEvT0_S7_S7_T1_bT2_lS7_S7_lbT3_lS7_S7_lS8_T4_lS7_S7_l: ; @_ZN9rocsolver6v33100L11gemm_kernelI19rocblas_complex_numIfElS3_PKPS3_S4_S6_EEvT0_S7_S7_T1_bT2_lS7_S7_lbT3_lS7_S7_lS8_T4_lS7_S7_l
; %bb.0:
	s_clause 0x1
	s_load_b32 s2, s[0:1], 0xbc
	s_load_b128 s[4:7], s[0:1], 0x0
	s_bfe_u32 s8, ttmp6, 0x40010
	s_bfe_u32 s11, ttmp6, 0x4000c
	s_and_b32 s3, ttmp7, 0xffff
	s_add_co_i32 s8, s8, 1
	s_add_co_i32 s11, s11, 1
	s_bfe_u32 s9, ttmp6, 0x40004
	s_and_b32 s10, ttmp6, 15
	s_mul_i32 s8, s3, s8
	s_mul_i32 s11, ttmp9, s11
	s_getreg_b32 s12, hwreg(HW_REG_IB_STS2, 6, 4)
	v_mov_b32_e32 v5, 0
	v_and_b32_e32 v4, 0x3ff, v0
	s_add_co_i32 s9, s9, s8
	s_add_co_i32 s10, s10, s11
	s_mov_b32 s35, 0
	s_wait_kmcnt 0x0
	s_lshr_b32 s8, s2, 16
	s_and_b32 s2, s2, 0xffff
	s_cmp_eq_u32 s12, 0
	s_cselect_b32 s10, ttmp9, s10
	s_delay_alu instid0(SALU_CYCLE_1)
	v_mad_nc_u64_u32 v[2:3], s2, s10, v[4:5]
	v_bfe_u32 v4, v0, 10, 10
	s_cselect_b32 s2, s3, s9
	s_delay_alu instid0(VALU_DEP_1) | instid1(SALU_CYCLE_1)
	v_mad_nc_u64_u32 v[0:1], s8, s2, v[4:5]
	s_delay_alu instid0(VALU_DEP_3) | instskip(NEXT) | instid1(VALU_DEP_2)
	v_cmp_gt_i64_e32 vcc_lo, s[4:5], v[2:3]
	v_cmp_gt_i64_e64 s2, s[6:7], v[0:1]
	s_and_b32 s2, vcc_lo, s2
	s_delay_alu instid0(SALU_CYCLE_1)
	s_and_saveexec_b32 s3, s2
	s_cbranch_execz .LBB49_9
; %bb.1:
	s_clause 0x3
	s_load_b64 s[36:37], s[0:1], 0x10
	s_load_b96 s[28:30], s[0:1], 0x18
	s_load_b256 s[4:11], s[0:1], 0x88
	s_load_b64 s[2:3], s[0:1], 0x80
	s_bfe_u32 s14, ttmp6, 0x40014
	s_lshr_b32 s13, ttmp7, 16
	s_add_co_i32 s14, s14, 1
	s_bfe_u32 s15, ttmp6, 0x40008
	s_mul_i32 s14, s13, s14
	v_mov_b32_e32 v4, 0
	s_add_co_i32 s15, s15, s14
	s_cmp_eq_u32 s12, 0
	s_cselect_b32 s34, s13, s15
	s_wait_kmcnt 0x0
	v_cmp_lt_i64_e64 s16, s[36:37], 1
	s_and_b32 vcc_lo, exec_lo, s16
	s_cbranch_vccnz .LBB49_8
; %bb.2:
	s_clause 0x1
	s_load_b256 s[12:19], s[0:1], 0x28
	s_load_b256 s[20:27], s[0:1], 0x58
	s_bitcmp1_b32 s30, 0
	s_wait_kmcnt 0x0
	v_mul_u64_e32 v[4:5], s[16:17], v[2:3]
	v_mul_u64_e32 v[6:7], s[26:27], v[0:1]
	s_clause 0x1
	s_load_b32 s17, s[0:1], 0x50
	s_load_b64 s[26:27], s[0:1], 0x78
	s_load_b64 s[38:39], s[12:13], s34 offset:0x0 scale_offset
	s_wait_xcnt 0x0
	s_cselect_b32 s0, -1, 0
	s_delay_alu instid0(SALU_CYCLE_1)
	s_xor_b32 s16, s0, -1
	s_wait_kmcnt 0x0
	s_bitcmp1_b32 s17, 0
	s_mul_u64 s[0:1], s[26:27], s[34:35]
	s_cselect_b32 s17, -1, 0
	s_lshl_b64 s[12:13], s[14:15], 3
	s_lshl_b64 s[14:15], s[22:23], 3
	;; [unrolled: 1-line block ×3, first 2 shown]
	s_add_nc_u64 s[14:15], s[20:21], s[14:15]
	s_add_nc_u64 s[12:13], s[38:39], s[12:13]
	;; [unrolled: 1-line block ×3, first 2 shown]
	s_delay_alu instid0(VALU_DEP_2) | instskip(NEXT) | instid1(VALU_DEP_2)
	v_lshl_add_u64 v[4:5], v[4:5], 3, s[12:13]
	v_lshl_add_u64 v[8:9], v[6:7], 3, s[0:1]
	s_lshl_b64 s[0:1], s[18:19], 3
	s_lshl_b64 s[12:13], s[24:25], 3
	s_delay_alu instid0(VALU_DEP_2) | instskip(NEXT) | instid1(VALU_DEP_2)
	v_add_nc_u64_e32 v[6:7], 4, v[4:5]
	v_add_nc_u64_e32 v[8:9], 4, v[8:9]
	v_dual_mov_b32 v5, 0 :: v_dual_mov_b32 v4, 0
	s_branch .LBB49_4
.LBB49_3:                               ;   in Loop: Header=BB49_4 Depth=1
	global_load_b64 v[12:13], v[8:9], off offset:-4
	s_wait_xcnt 0x1
	v_add_nc_u64_e32 v[6:7], s[0:1], v[6:7]
	s_wait_xcnt 0x0
	v_add_nc_u64_e32 v[8:9], s[12:13], v[8:9]
	s_add_nc_u64 s[36:37], s[36:37], -1
	s_delay_alu instid0(SALU_CYCLE_1) | instskip(SKIP_2) | instid1(VALU_DEP_1)
	s_cmp_eq_u64 s[36:37], 0
	s_wait_loadcnt_dscnt 0x0
	v_dual_cndmask_b32 v13, v13, -v13, s17 :: v_dual_mul_f32 v14, v11, v12
	v_dual_mul_f32 v11, v11, v13 :: v_dual_fmac_f32 v14, v13, v10
	s_delay_alu instid0(VALU_DEP_1) | instskip(NEXT) | instid1(VALU_DEP_2)
	v_fma_f32 v10, v12, v10, -v11
	v_add_f32_e32 v5, v5, v14
	s_delay_alu instid0(VALU_DEP_2)
	v_add_f32_e32 v4, v4, v10
	s_cbranch_scc1 .LBB49_8
.LBB49_4:                               ; =>This Inner Loop Header: Depth=1
	s_and_b32 vcc_lo, exec_lo, s16
	s_mov_b32 s14, -1
                                        ; implicit-def: $vgpr11
	s_cbranch_vccz .LBB49_6
; %bb.5:                                ;   in Loop: Header=BB49_4 Depth=1
	flat_load_b64 v[10:11], v[6:7] offset:-4
	s_mov_b32 s14, 0
.LBB49_6:                               ;   in Loop: Header=BB49_4 Depth=1
	s_delay_alu instid0(SALU_CYCLE_1)
	s_and_not1_b32 vcc_lo, exec_lo, s14
	s_cbranch_vccnz .LBB49_3
; %bb.7:                                ;   in Loop: Header=BB49_4 Depth=1
	s_wait_loadcnt_dscnt 0x0
	flat_load_b64 v[10:11], v[6:7] offset:-4
	s_wait_loadcnt_dscnt 0x0
	v_xor_b32_e32 v11, 0x80000000, v11
	s_branch .LBB49_3
.LBB49_8:
	v_mul_u64_e32 v[2:3], s[8:9], v[2:3]
	v_mul_u64_e32 v[0:1], s[10:11], v[0:1]
	s_load_b64 s[0:1], s[4:5], s34 offset:0x0 scale_offset
	s_wait_xcnt 0x0
	s_lshl_b64 s[4:5], s[6:7], 3
	v_mov_b64_e32 v[8:9], s[28:29]
	v_mov_b64_e32 v[10:11], s[2:3]
	v_mov_b32_e32 v6, v5
	s_delay_alu instid0(VALU_DEP_1) | instskip(NEXT) | instid1(VALU_DEP_1)
	v_pk_mul_f32 v[6:7], v[8:9], v[6:7] op_sel:[1,0] op_sel_hi:[0,0]
	v_pk_fma_f32 v[14:15], v[8:9], v[4:5], v[6:7] op_sel_hi:[1,0,1]
	v_pk_fma_f32 v[4:5], v[8:9], v[4:5], v[6:7] neg_lo:[0,0,1] neg_hi:[0,0,1]
	s_delay_alu instid0(VALU_DEP_2) | instskip(SKIP_2) | instid1(SALU_CYCLE_1)
	v_mov_b32_e32 v5, v15
	s_wait_kmcnt 0x0
	s_add_nc_u64 s[0:1], s[0:1], s[4:5]
	v_lshl_add_u64 v[2:3], v[2:3], 3, s[0:1]
	s_delay_alu instid0(VALU_DEP_1) | instskip(SKIP_3) | instid1(VALU_DEP_1)
	v_lshl_add_u64 v[0:1], v[0:1], 3, v[2:3]
	flat_load_b64 v[2:3], v[0:1]
	s_wait_loadcnt_dscnt 0x0
	v_pk_mul_f32 v[12:13], v[10:11], v[2:3] op_sel:[1,1] op_sel_hi:[0,1]
	v_pk_fma_f32 v[16:17], v[10:11], v[2:3], v[12:13] op_sel_hi:[1,0,1]
	v_pk_fma_f32 v[2:3], v[10:11], v[2:3], v[12:13] neg_lo:[0,0,1] neg_hi:[0,0,1]
	s_delay_alu instid0(VALU_DEP_2) | instskip(NEXT) | instid1(VALU_DEP_1)
	v_mov_b32_e32 v3, v17
	v_pk_add_f32 v[2:3], v[4:5], v[2:3]
	flat_store_b64 v[0:1], v[2:3]
.LBB49_9:
	s_endpgm
	.section	.rodata,"a",@progbits
	.p2align	6, 0x0
	.amdhsa_kernel _ZN9rocsolver6v33100L11gemm_kernelI19rocblas_complex_numIfElS3_PKPS3_S4_S6_EEvT0_S7_S7_T1_bT2_lS7_S7_lbT3_lS7_S7_lS8_T4_lS7_S7_l
		.amdhsa_group_segment_fixed_size 0
		.amdhsa_private_segment_fixed_size 0
		.amdhsa_kernarg_size 432
		.amdhsa_user_sgpr_count 2
		.amdhsa_user_sgpr_dispatch_ptr 0
		.amdhsa_user_sgpr_queue_ptr 0
		.amdhsa_user_sgpr_kernarg_segment_ptr 1
		.amdhsa_user_sgpr_dispatch_id 0
		.amdhsa_user_sgpr_kernarg_preload_length 0
		.amdhsa_user_sgpr_kernarg_preload_offset 0
		.amdhsa_user_sgpr_private_segment_size 0
		.amdhsa_wavefront_size32 1
		.amdhsa_uses_dynamic_stack 0
		.amdhsa_enable_private_segment 0
		.amdhsa_system_sgpr_workgroup_id_x 1
		.amdhsa_system_sgpr_workgroup_id_y 1
		.amdhsa_system_sgpr_workgroup_id_z 1
		.amdhsa_system_sgpr_workgroup_info 0
		.amdhsa_system_vgpr_workitem_id 1
		.amdhsa_next_free_vgpr 18
		.amdhsa_next_free_sgpr 40
		.amdhsa_named_barrier_count 0
		.amdhsa_reserve_vcc 1
		.amdhsa_float_round_mode_32 0
		.amdhsa_float_round_mode_16_64 0
		.amdhsa_float_denorm_mode_32 3
		.amdhsa_float_denorm_mode_16_64 3
		.amdhsa_fp16_overflow 0
		.amdhsa_memory_ordered 1
		.amdhsa_forward_progress 1
		.amdhsa_inst_pref_size 7
		.amdhsa_round_robin_scheduling 0
		.amdhsa_exception_fp_ieee_invalid_op 0
		.amdhsa_exception_fp_denorm_src 0
		.amdhsa_exception_fp_ieee_div_zero 0
		.amdhsa_exception_fp_ieee_overflow 0
		.amdhsa_exception_fp_ieee_underflow 0
		.amdhsa_exception_fp_ieee_inexact 0
		.amdhsa_exception_int_div_zero 0
	.end_amdhsa_kernel
	.section	.text._ZN9rocsolver6v33100L11gemm_kernelI19rocblas_complex_numIfElS3_PKPS3_S4_S6_EEvT0_S7_S7_T1_bT2_lS7_S7_lbT3_lS7_S7_lS8_T4_lS7_S7_l,"axG",@progbits,_ZN9rocsolver6v33100L11gemm_kernelI19rocblas_complex_numIfElS3_PKPS3_S4_S6_EEvT0_S7_S7_T1_bT2_lS7_S7_lbT3_lS7_S7_lS8_T4_lS7_S7_l,comdat
.Lfunc_end49:
	.size	_ZN9rocsolver6v33100L11gemm_kernelI19rocblas_complex_numIfElS3_PKPS3_S4_S6_EEvT0_S7_S7_T1_bT2_lS7_S7_lbT3_lS7_S7_lS8_T4_lS7_S7_l, .Lfunc_end49-_ZN9rocsolver6v33100L11gemm_kernelI19rocblas_complex_numIfElS3_PKPS3_S4_S6_EEvT0_S7_S7_T1_bT2_lS7_S7_lbT3_lS7_S7_lS8_T4_lS7_S7_l
                                        ; -- End function
	.set _ZN9rocsolver6v33100L11gemm_kernelI19rocblas_complex_numIfElS3_PKPS3_S4_S6_EEvT0_S7_S7_T1_bT2_lS7_S7_lbT3_lS7_S7_lS8_T4_lS7_S7_l.num_vgpr, 18
	.set _ZN9rocsolver6v33100L11gemm_kernelI19rocblas_complex_numIfElS3_PKPS3_S4_S6_EEvT0_S7_S7_T1_bT2_lS7_S7_lbT3_lS7_S7_lS8_T4_lS7_S7_l.num_agpr, 0
	.set _ZN9rocsolver6v33100L11gemm_kernelI19rocblas_complex_numIfElS3_PKPS3_S4_S6_EEvT0_S7_S7_T1_bT2_lS7_S7_lbT3_lS7_S7_lS8_T4_lS7_S7_l.numbered_sgpr, 40
	.set _ZN9rocsolver6v33100L11gemm_kernelI19rocblas_complex_numIfElS3_PKPS3_S4_S6_EEvT0_S7_S7_T1_bT2_lS7_S7_lbT3_lS7_S7_lS8_T4_lS7_S7_l.num_named_barrier, 0
	.set _ZN9rocsolver6v33100L11gemm_kernelI19rocblas_complex_numIfElS3_PKPS3_S4_S6_EEvT0_S7_S7_T1_bT2_lS7_S7_lbT3_lS7_S7_lS8_T4_lS7_S7_l.private_seg_size, 0
	.set _ZN9rocsolver6v33100L11gemm_kernelI19rocblas_complex_numIfElS3_PKPS3_S4_S6_EEvT0_S7_S7_T1_bT2_lS7_S7_lbT3_lS7_S7_lS8_T4_lS7_S7_l.uses_vcc, 1
	.set _ZN9rocsolver6v33100L11gemm_kernelI19rocblas_complex_numIfElS3_PKPS3_S4_S6_EEvT0_S7_S7_T1_bT2_lS7_S7_lbT3_lS7_S7_lS8_T4_lS7_S7_l.uses_flat_scratch, 0
	.set _ZN9rocsolver6v33100L11gemm_kernelI19rocblas_complex_numIfElS3_PKPS3_S4_S6_EEvT0_S7_S7_T1_bT2_lS7_S7_lbT3_lS7_S7_lS8_T4_lS7_S7_l.has_dyn_sized_stack, 0
	.set _ZN9rocsolver6v33100L11gemm_kernelI19rocblas_complex_numIfElS3_PKPS3_S4_S6_EEvT0_S7_S7_T1_bT2_lS7_S7_lbT3_lS7_S7_lS8_T4_lS7_S7_l.has_recursion, 0
	.set _ZN9rocsolver6v33100L11gemm_kernelI19rocblas_complex_numIfElS3_PKPS3_S4_S6_EEvT0_S7_S7_T1_bT2_lS7_S7_lbT3_lS7_S7_lS8_T4_lS7_S7_l.has_indirect_call, 0
	.section	.AMDGPU.csdata,"",@progbits
; Kernel info:
; codeLenInByte = 800
; TotalNumSgprs: 42
; NumVgprs: 18
; ScratchSize: 0
; MemoryBound: 0
; FloatMode: 240
; IeeeMode: 1
; LDSByteSize: 0 bytes/workgroup (compile time only)
; SGPRBlocks: 0
; VGPRBlocks: 1
; NumSGPRsForWavesPerEU: 42
; NumVGPRsForWavesPerEU: 18
; NamedBarCnt: 0
; Occupancy: 16
; WaveLimiterHint : 1
; COMPUTE_PGM_RSRC2:SCRATCH_EN: 0
; COMPUTE_PGM_RSRC2:USER_SGPR: 2
; COMPUTE_PGM_RSRC2:TRAP_HANDLER: 0
; COMPUTE_PGM_RSRC2:TGID_X_EN: 1
; COMPUTE_PGM_RSRC2:TGID_Y_EN: 1
; COMPUTE_PGM_RSRC2:TGID_Z_EN: 1
; COMPUTE_PGM_RSRC2:TIDIG_COMP_CNT: 1
	.section	.text._ZN9rocsolver6v33100L16mfma_gemm_kernelI19rocblas_complex_numIfElPKS3_PKPS3_S8_S6_EEv18rocblas_operation_S9_T0_SA_SA_T1_T2_lSA_SA_lT3_lSA_SA_lSB_T4_lSA_SA_l,"axG",@progbits,_ZN9rocsolver6v33100L16mfma_gemm_kernelI19rocblas_complex_numIfElPKS3_PKPS3_S8_S6_EEv18rocblas_operation_S9_T0_SA_SA_T1_T2_lSA_SA_lT3_lSA_SA_lSB_T4_lSA_SA_l,comdat
	.globl	_ZN9rocsolver6v33100L16mfma_gemm_kernelI19rocblas_complex_numIfElPKS3_PKPS3_S8_S6_EEv18rocblas_operation_S9_T0_SA_SA_T1_T2_lSA_SA_lT3_lSA_SA_lSB_T4_lSA_SA_l ; -- Begin function _ZN9rocsolver6v33100L16mfma_gemm_kernelI19rocblas_complex_numIfElPKS3_PKPS3_S8_S6_EEv18rocblas_operation_S9_T0_SA_SA_T1_T2_lSA_SA_lT3_lSA_SA_lSB_T4_lSA_SA_l
	.p2align	8
	.type	_ZN9rocsolver6v33100L16mfma_gemm_kernelI19rocblas_complex_numIfElPKS3_PKPS3_S8_S6_EEv18rocblas_operation_S9_T0_SA_SA_T1_T2_lSA_SA_lT3_lSA_SA_lSB_T4_lSA_SA_l,@function
_ZN9rocsolver6v33100L16mfma_gemm_kernelI19rocblas_complex_numIfElPKS3_PKPS3_S8_S6_EEv18rocblas_operation_S9_T0_SA_SA_T1_T2_lSA_SA_lT3_lSA_SA_lSB_T4_lSA_SA_l: ; @_ZN9rocsolver6v33100L16mfma_gemm_kernelI19rocblas_complex_numIfElPKS3_PKPS3_S8_S6_EEv18rocblas_operation_S9_T0_SA_SA_T1_T2_lSA_SA_lT3_lSA_SA_lSB_T4_lSA_SA_l
; %bb.0:
	s_endpgm
	.section	.rodata,"a",@progbits
	.p2align	6, 0x0
	.amdhsa_kernel _ZN9rocsolver6v33100L16mfma_gemm_kernelI19rocblas_complex_numIfElPKS3_PKPS3_S8_S6_EEv18rocblas_operation_S9_T0_SA_SA_T1_T2_lSA_SA_lT3_lSA_SA_lSB_T4_lSA_SA_l
		.amdhsa_group_segment_fixed_size 0
		.amdhsa_private_segment_fixed_size 0
		.amdhsa_kernarg_size 168
		.amdhsa_user_sgpr_count 2
		.amdhsa_user_sgpr_dispatch_ptr 0
		.amdhsa_user_sgpr_queue_ptr 0
		.amdhsa_user_sgpr_kernarg_segment_ptr 1
		.amdhsa_user_sgpr_dispatch_id 0
		.amdhsa_user_sgpr_kernarg_preload_length 0
		.amdhsa_user_sgpr_kernarg_preload_offset 0
		.amdhsa_user_sgpr_private_segment_size 0
		.amdhsa_wavefront_size32 1
		.amdhsa_uses_dynamic_stack 0
		.amdhsa_enable_private_segment 0
		.amdhsa_system_sgpr_workgroup_id_x 1
		.amdhsa_system_sgpr_workgroup_id_y 0
		.amdhsa_system_sgpr_workgroup_id_z 0
		.amdhsa_system_sgpr_workgroup_info 0
		.amdhsa_system_vgpr_workitem_id 0
		.amdhsa_next_free_vgpr 1
		.amdhsa_next_free_sgpr 1
		.amdhsa_named_barrier_count 0
		.amdhsa_reserve_vcc 0
		.amdhsa_float_round_mode_32 0
		.amdhsa_float_round_mode_16_64 0
		.amdhsa_float_denorm_mode_32 3
		.amdhsa_float_denorm_mode_16_64 3
		.amdhsa_fp16_overflow 0
		.amdhsa_memory_ordered 1
		.amdhsa_forward_progress 1
		.amdhsa_inst_pref_size 1
		.amdhsa_round_robin_scheduling 0
		.amdhsa_exception_fp_ieee_invalid_op 0
		.amdhsa_exception_fp_denorm_src 0
		.amdhsa_exception_fp_ieee_div_zero 0
		.amdhsa_exception_fp_ieee_overflow 0
		.amdhsa_exception_fp_ieee_underflow 0
		.amdhsa_exception_fp_ieee_inexact 0
		.amdhsa_exception_int_div_zero 0
	.end_amdhsa_kernel
	.section	.text._ZN9rocsolver6v33100L16mfma_gemm_kernelI19rocblas_complex_numIfElPKS3_PKPS3_S8_S6_EEv18rocblas_operation_S9_T0_SA_SA_T1_T2_lSA_SA_lT3_lSA_SA_lSB_T4_lSA_SA_l,"axG",@progbits,_ZN9rocsolver6v33100L16mfma_gemm_kernelI19rocblas_complex_numIfElPKS3_PKPS3_S8_S6_EEv18rocblas_operation_S9_T0_SA_SA_T1_T2_lSA_SA_lT3_lSA_SA_lSB_T4_lSA_SA_l,comdat
.Lfunc_end50:
	.size	_ZN9rocsolver6v33100L16mfma_gemm_kernelI19rocblas_complex_numIfElPKS3_PKPS3_S8_S6_EEv18rocblas_operation_S9_T0_SA_SA_T1_T2_lSA_SA_lT3_lSA_SA_lSB_T4_lSA_SA_l, .Lfunc_end50-_ZN9rocsolver6v33100L16mfma_gemm_kernelI19rocblas_complex_numIfElPKS3_PKPS3_S8_S6_EEv18rocblas_operation_S9_T0_SA_SA_T1_T2_lSA_SA_lT3_lSA_SA_lSB_T4_lSA_SA_l
                                        ; -- End function
	.set _ZN9rocsolver6v33100L16mfma_gemm_kernelI19rocblas_complex_numIfElPKS3_PKPS3_S8_S6_EEv18rocblas_operation_S9_T0_SA_SA_T1_T2_lSA_SA_lT3_lSA_SA_lSB_T4_lSA_SA_l.num_vgpr, 0
	.set _ZN9rocsolver6v33100L16mfma_gemm_kernelI19rocblas_complex_numIfElPKS3_PKPS3_S8_S6_EEv18rocblas_operation_S9_T0_SA_SA_T1_T2_lSA_SA_lT3_lSA_SA_lSB_T4_lSA_SA_l.num_agpr, 0
	.set _ZN9rocsolver6v33100L16mfma_gemm_kernelI19rocblas_complex_numIfElPKS3_PKPS3_S8_S6_EEv18rocblas_operation_S9_T0_SA_SA_T1_T2_lSA_SA_lT3_lSA_SA_lSB_T4_lSA_SA_l.numbered_sgpr, 0
	.set _ZN9rocsolver6v33100L16mfma_gemm_kernelI19rocblas_complex_numIfElPKS3_PKPS3_S8_S6_EEv18rocblas_operation_S9_T0_SA_SA_T1_T2_lSA_SA_lT3_lSA_SA_lSB_T4_lSA_SA_l.num_named_barrier, 0
	.set _ZN9rocsolver6v33100L16mfma_gemm_kernelI19rocblas_complex_numIfElPKS3_PKPS3_S8_S6_EEv18rocblas_operation_S9_T0_SA_SA_T1_T2_lSA_SA_lT3_lSA_SA_lSB_T4_lSA_SA_l.private_seg_size, 0
	.set _ZN9rocsolver6v33100L16mfma_gemm_kernelI19rocblas_complex_numIfElPKS3_PKPS3_S8_S6_EEv18rocblas_operation_S9_T0_SA_SA_T1_T2_lSA_SA_lT3_lSA_SA_lSB_T4_lSA_SA_l.uses_vcc, 0
	.set _ZN9rocsolver6v33100L16mfma_gemm_kernelI19rocblas_complex_numIfElPKS3_PKPS3_S8_S6_EEv18rocblas_operation_S9_T0_SA_SA_T1_T2_lSA_SA_lT3_lSA_SA_lSB_T4_lSA_SA_l.uses_flat_scratch, 0
	.set _ZN9rocsolver6v33100L16mfma_gemm_kernelI19rocblas_complex_numIfElPKS3_PKPS3_S8_S6_EEv18rocblas_operation_S9_T0_SA_SA_T1_T2_lSA_SA_lT3_lSA_SA_lSB_T4_lSA_SA_l.has_dyn_sized_stack, 0
	.set _ZN9rocsolver6v33100L16mfma_gemm_kernelI19rocblas_complex_numIfElPKS3_PKPS3_S8_S6_EEv18rocblas_operation_S9_T0_SA_SA_T1_T2_lSA_SA_lT3_lSA_SA_lSB_T4_lSA_SA_l.has_recursion, 0
	.set _ZN9rocsolver6v33100L16mfma_gemm_kernelI19rocblas_complex_numIfElPKS3_PKPS3_S8_S6_EEv18rocblas_operation_S9_T0_SA_SA_T1_T2_lSA_SA_lT3_lSA_SA_lSB_T4_lSA_SA_l.has_indirect_call, 0
	.section	.AMDGPU.csdata,"",@progbits
; Kernel info:
; codeLenInByte = 4
; TotalNumSgprs: 0
; NumVgprs: 0
; ScratchSize: 0
; MemoryBound: 0
; FloatMode: 240
; IeeeMode: 1
; LDSByteSize: 0 bytes/workgroup (compile time only)
; SGPRBlocks: 0
; VGPRBlocks: 0
; NumSGPRsForWavesPerEU: 1
; NumVGPRsForWavesPerEU: 1
; NamedBarCnt: 0
; Occupancy: 16
; WaveLimiterHint : 0
; COMPUTE_PGM_RSRC2:SCRATCH_EN: 0
; COMPUTE_PGM_RSRC2:USER_SGPR: 2
; COMPUTE_PGM_RSRC2:TRAP_HANDLER: 0
; COMPUTE_PGM_RSRC2:TGID_X_EN: 1
; COMPUTE_PGM_RSRC2:TGID_Y_EN: 0
; COMPUTE_PGM_RSRC2:TGID_Z_EN: 0
; COMPUTE_PGM_RSRC2:TIDIG_COMP_CNT: 0
	.section	.text._ZN9rocsolver6v33100L16mfma_gemm_kernelI19rocblas_complex_numIfElS3_PKPS3_S6_S4_EEv18rocblas_operation_S7_T0_S8_S8_T1_T2_lS8_S8_lT3_lS8_S8_lS9_T4_lS8_S8_l,"axG",@progbits,_ZN9rocsolver6v33100L16mfma_gemm_kernelI19rocblas_complex_numIfElS3_PKPS3_S6_S4_EEv18rocblas_operation_S7_T0_S8_S8_T1_T2_lS8_S8_lT3_lS8_S8_lS9_T4_lS8_S8_l,comdat
	.globl	_ZN9rocsolver6v33100L16mfma_gemm_kernelI19rocblas_complex_numIfElS3_PKPS3_S6_S4_EEv18rocblas_operation_S7_T0_S8_S8_T1_T2_lS8_S8_lT3_lS8_S8_lS9_T4_lS8_S8_l ; -- Begin function _ZN9rocsolver6v33100L16mfma_gemm_kernelI19rocblas_complex_numIfElS3_PKPS3_S6_S4_EEv18rocblas_operation_S7_T0_S8_S8_T1_T2_lS8_S8_lT3_lS8_S8_lS9_T4_lS8_S8_l
	.p2align	8
	.type	_ZN9rocsolver6v33100L16mfma_gemm_kernelI19rocblas_complex_numIfElS3_PKPS3_S6_S4_EEv18rocblas_operation_S7_T0_S8_S8_T1_T2_lS8_S8_lT3_lS8_S8_lS9_T4_lS8_S8_l,@function
_ZN9rocsolver6v33100L16mfma_gemm_kernelI19rocblas_complex_numIfElS3_PKPS3_S6_S4_EEv18rocblas_operation_S7_T0_S8_S8_T1_T2_lS8_S8_lT3_lS8_S8_lS9_T4_lS8_S8_l: ; @_ZN9rocsolver6v33100L16mfma_gemm_kernelI19rocblas_complex_numIfElS3_PKPS3_S6_S4_EEv18rocblas_operation_S7_T0_S8_S8_T1_T2_lS8_S8_lT3_lS8_S8_lS9_T4_lS8_S8_l
; %bb.0:
	s_endpgm
	.section	.rodata,"a",@progbits
	.p2align	6, 0x0
	.amdhsa_kernel _ZN9rocsolver6v33100L16mfma_gemm_kernelI19rocblas_complex_numIfElS3_PKPS3_S6_S4_EEv18rocblas_operation_S7_T0_S8_S8_T1_T2_lS8_S8_lT3_lS8_S8_lS9_T4_lS8_S8_l
		.amdhsa_group_segment_fixed_size 0
		.amdhsa_private_segment_fixed_size 0
		.amdhsa_kernarg_size 168
		.amdhsa_user_sgpr_count 2
		.amdhsa_user_sgpr_dispatch_ptr 0
		.amdhsa_user_sgpr_queue_ptr 0
		.amdhsa_user_sgpr_kernarg_segment_ptr 1
		.amdhsa_user_sgpr_dispatch_id 0
		.amdhsa_user_sgpr_kernarg_preload_length 0
		.amdhsa_user_sgpr_kernarg_preload_offset 0
		.amdhsa_user_sgpr_private_segment_size 0
		.amdhsa_wavefront_size32 1
		.amdhsa_uses_dynamic_stack 0
		.amdhsa_enable_private_segment 0
		.amdhsa_system_sgpr_workgroup_id_x 1
		.amdhsa_system_sgpr_workgroup_id_y 0
		.amdhsa_system_sgpr_workgroup_id_z 0
		.amdhsa_system_sgpr_workgroup_info 0
		.amdhsa_system_vgpr_workitem_id 0
		.amdhsa_next_free_vgpr 1
		.amdhsa_next_free_sgpr 1
		.amdhsa_named_barrier_count 0
		.amdhsa_reserve_vcc 0
		.amdhsa_float_round_mode_32 0
		.amdhsa_float_round_mode_16_64 0
		.amdhsa_float_denorm_mode_32 3
		.amdhsa_float_denorm_mode_16_64 3
		.amdhsa_fp16_overflow 0
		.amdhsa_memory_ordered 1
		.amdhsa_forward_progress 1
		.amdhsa_inst_pref_size 1
		.amdhsa_round_robin_scheduling 0
		.amdhsa_exception_fp_ieee_invalid_op 0
		.amdhsa_exception_fp_denorm_src 0
		.amdhsa_exception_fp_ieee_div_zero 0
		.amdhsa_exception_fp_ieee_overflow 0
		.amdhsa_exception_fp_ieee_underflow 0
		.amdhsa_exception_fp_ieee_inexact 0
		.amdhsa_exception_int_div_zero 0
	.end_amdhsa_kernel
	.section	.text._ZN9rocsolver6v33100L16mfma_gemm_kernelI19rocblas_complex_numIfElS3_PKPS3_S6_S4_EEv18rocblas_operation_S7_T0_S8_S8_T1_T2_lS8_S8_lT3_lS8_S8_lS9_T4_lS8_S8_l,"axG",@progbits,_ZN9rocsolver6v33100L16mfma_gemm_kernelI19rocblas_complex_numIfElS3_PKPS3_S6_S4_EEv18rocblas_operation_S7_T0_S8_S8_T1_T2_lS8_S8_lT3_lS8_S8_lS9_T4_lS8_S8_l,comdat
.Lfunc_end51:
	.size	_ZN9rocsolver6v33100L16mfma_gemm_kernelI19rocblas_complex_numIfElS3_PKPS3_S6_S4_EEv18rocblas_operation_S7_T0_S8_S8_T1_T2_lS8_S8_lT3_lS8_S8_lS9_T4_lS8_S8_l, .Lfunc_end51-_ZN9rocsolver6v33100L16mfma_gemm_kernelI19rocblas_complex_numIfElS3_PKPS3_S6_S4_EEv18rocblas_operation_S7_T0_S8_S8_T1_T2_lS8_S8_lT3_lS8_S8_lS9_T4_lS8_S8_l
                                        ; -- End function
	.set _ZN9rocsolver6v33100L16mfma_gemm_kernelI19rocblas_complex_numIfElS3_PKPS3_S6_S4_EEv18rocblas_operation_S7_T0_S8_S8_T1_T2_lS8_S8_lT3_lS8_S8_lS9_T4_lS8_S8_l.num_vgpr, 0
	.set _ZN9rocsolver6v33100L16mfma_gemm_kernelI19rocblas_complex_numIfElS3_PKPS3_S6_S4_EEv18rocblas_operation_S7_T0_S8_S8_T1_T2_lS8_S8_lT3_lS8_S8_lS9_T4_lS8_S8_l.num_agpr, 0
	.set _ZN9rocsolver6v33100L16mfma_gemm_kernelI19rocblas_complex_numIfElS3_PKPS3_S6_S4_EEv18rocblas_operation_S7_T0_S8_S8_T1_T2_lS8_S8_lT3_lS8_S8_lS9_T4_lS8_S8_l.numbered_sgpr, 0
	.set _ZN9rocsolver6v33100L16mfma_gemm_kernelI19rocblas_complex_numIfElS3_PKPS3_S6_S4_EEv18rocblas_operation_S7_T0_S8_S8_T1_T2_lS8_S8_lT3_lS8_S8_lS9_T4_lS8_S8_l.num_named_barrier, 0
	.set _ZN9rocsolver6v33100L16mfma_gemm_kernelI19rocblas_complex_numIfElS3_PKPS3_S6_S4_EEv18rocblas_operation_S7_T0_S8_S8_T1_T2_lS8_S8_lT3_lS8_S8_lS9_T4_lS8_S8_l.private_seg_size, 0
	.set _ZN9rocsolver6v33100L16mfma_gemm_kernelI19rocblas_complex_numIfElS3_PKPS3_S6_S4_EEv18rocblas_operation_S7_T0_S8_S8_T1_T2_lS8_S8_lT3_lS8_S8_lS9_T4_lS8_S8_l.uses_vcc, 0
	.set _ZN9rocsolver6v33100L16mfma_gemm_kernelI19rocblas_complex_numIfElS3_PKPS3_S6_S4_EEv18rocblas_operation_S7_T0_S8_S8_T1_T2_lS8_S8_lT3_lS8_S8_lS9_T4_lS8_S8_l.uses_flat_scratch, 0
	.set _ZN9rocsolver6v33100L16mfma_gemm_kernelI19rocblas_complex_numIfElS3_PKPS3_S6_S4_EEv18rocblas_operation_S7_T0_S8_S8_T1_T2_lS8_S8_lT3_lS8_S8_lS9_T4_lS8_S8_l.has_dyn_sized_stack, 0
	.set _ZN9rocsolver6v33100L16mfma_gemm_kernelI19rocblas_complex_numIfElS3_PKPS3_S6_S4_EEv18rocblas_operation_S7_T0_S8_S8_T1_T2_lS8_S8_lT3_lS8_S8_lS9_T4_lS8_S8_l.has_recursion, 0
	.set _ZN9rocsolver6v33100L16mfma_gemm_kernelI19rocblas_complex_numIfElS3_PKPS3_S6_S4_EEv18rocblas_operation_S7_T0_S8_S8_T1_T2_lS8_S8_lT3_lS8_S8_lS9_T4_lS8_S8_l.has_indirect_call, 0
	.section	.AMDGPU.csdata,"",@progbits
; Kernel info:
; codeLenInByte = 4
; TotalNumSgprs: 0
; NumVgprs: 0
; ScratchSize: 0
; MemoryBound: 0
; FloatMode: 240
; IeeeMode: 1
; LDSByteSize: 0 bytes/workgroup (compile time only)
; SGPRBlocks: 0
; VGPRBlocks: 0
; NumSGPRsForWavesPerEU: 1
; NumVGPRsForWavesPerEU: 1
; NamedBarCnt: 0
; Occupancy: 16
; WaveLimiterHint : 0
; COMPUTE_PGM_RSRC2:SCRATCH_EN: 0
; COMPUTE_PGM_RSRC2:USER_SGPR: 2
; COMPUTE_PGM_RSRC2:TRAP_HANDLER: 0
; COMPUTE_PGM_RSRC2:TGID_X_EN: 1
; COMPUTE_PGM_RSRC2:TGID_Y_EN: 0
; COMPUTE_PGM_RSRC2:TGID_Z_EN: 0
; COMPUTE_PGM_RSRC2:TIDIG_COMP_CNT: 0
	.section	.text._ZN9rocsolver6v33100L11gemm_kernelI19rocblas_complex_numIfElPKS3_PKPS3_S8_S6_EEvT0_S9_S9_T1_bT2_lS9_S9_lbT3_lS9_S9_lSA_T4_lS9_S9_l,"axG",@progbits,_ZN9rocsolver6v33100L11gemm_kernelI19rocblas_complex_numIfElPKS3_PKPS3_S8_S6_EEvT0_S9_S9_T1_bT2_lS9_S9_lbT3_lS9_S9_lSA_T4_lS9_S9_l,comdat
	.globl	_ZN9rocsolver6v33100L11gemm_kernelI19rocblas_complex_numIfElPKS3_PKPS3_S8_S6_EEvT0_S9_S9_T1_bT2_lS9_S9_lbT3_lS9_S9_lSA_T4_lS9_S9_l ; -- Begin function _ZN9rocsolver6v33100L11gemm_kernelI19rocblas_complex_numIfElPKS3_PKPS3_S8_S6_EEvT0_S9_S9_T1_bT2_lS9_S9_lbT3_lS9_S9_lSA_T4_lS9_S9_l
	.p2align	8
	.type	_ZN9rocsolver6v33100L11gemm_kernelI19rocblas_complex_numIfElPKS3_PKPS3_S8_S6_EEvT0_S9_S9_T1_bT2_lS9_S9_lbT3_lS9_S9_lSA_T4_lS9_S9_l,@function
_ZN9rocsolver6v33100L11gemm_kernelI19rocblas_complex_numIfElPKS3_PKPS3_S8_S6_EEvT0_S9_S9_T1_bT2_lS9_S9_lbT3_lS9_S9_lSA_T4_lS9_S9_l: ; @_ZN9rocsolver6v33100L11gemm_kernelI19rocblas_complex_numIfElPKS3_PKPS3_S8_S6_EEvT0_S9_S9_T1_bT2_lS9_S9_lbT3_lS9_S9_lSA_T4_lS9_S9_l
; %bb.0:
	s_load_b32 s2, s[0:1], 0xbc
	s_bfe_u32 s4, ttmp6, 0x40010
	s_bfe_u32 s7, ttmp6, 0x4000c
	s_and_b32 s3, ttmp7, 0xffff
	s_add_co_i32 s4, s4, 1
	s_add_co_i32 s7, s7, 1
	s_bfe_u32 s5, ttmp6, 0x40004
	s_and_b32 s6, ttmp6, 15
	s_mul_i32 s4, s3, s4
	s_mul_i32 s7, ttmp9, s7
	s_getreg_b32 s16, hwreg(HW_REG_IB_STS2, 6, 4)
	v_mov_b32_e32 v5, 0
	v_and_b32_e32 v4, 0x3ff, v0
	s_add_co_i32 s5, s5, s4
	s_add_co_i32 s6, s6, s7
	s_load_b256 s[8:15], s[0:1], 0x0
	s_wait_kmcnt 0x0
	s_lshr_b32 s4, s2, 16
	s_and_b32 s2, s2, 0xffff
	s_cmp_eq_u32 s16, 0
	s_cselect_b32 s6, ttmp9, s6
	s_delay_alu instid0(SALU_CYCLE_1) | instskip(SKIP_3) | instid1(VALU_DEP_1)
	v_mad_nc_u64_u32 v[2:3], s2, s6, v[4:5]
	v_bfe_u32 v4, v0, 10, 10
	s_cselect_b32 s2, s3, s5
	s_mov_b32 s3, 0
	v_mad_nc_u64_u32 v[0:1], s4, s2, v[4:5]
	s_delay_alu instid0(VALU_DEP_3) | instskip(NEXT) | instid1(VALU_DEP_2)
	v_cmp_gt_i64_e32 vcc_lo, s[8:9], v[2:3]
	v_cmp_gt_i64_e64 s2, s[10:11], v[0:1]
	s_and_b32 s2, vcc_lo, s2
	s_delay_alu instid0(SALU_CYCLE_1)
	s_and_saveexec_b32 s4, s2
	s_cbranch_execz .LBB52_9
; %bb.1:
	s_clause 0x1
	s_load_b256 s[4:11], s[0:1], 0x80
	s_load_b128 s[36:39], s[0:1], 0xa0
	s_load_b64 s[34:35], s[14:15], 0x0
	s_bfe_u32 s2, ttmp6, 0x40014
	s_bfe_u32 s17, ttmp6, 0x40008
	s_add_co_i32 s2, s2, 1
	v_mov_b32_e32 v4, 0
	s_wait_kmcnt 0x0
	s_load_b64 s[14:15], s[4:5], 0x0
	s_wait_xcnt 0x0
	s_lshr_b32 s4, ttmp7, 16
	v_cmp_lt_i64_e64 s5, s[12:13], 1
	s_mul_i32 s2, s4, s2
	s_delay_alu instid0(SALU_CYCLE_1)
	s_add_co_i32 s17, s17, s2
	s_cmp_eq_u32 s16, 0
	s_cselect_b32 s2, s4, s17
	s_and_b32 vcc_lo, exec_lo, s5
	s_cbranch_vccnz .LBB52_8
; %bb.2:
	s_clause 0x2
	s_load_b256 s[16:23], s[0:1], 0x28
	s_load_b256 s[24:31], s[0:1], 0x58
	s_load_b32 s33, s[0:1], 0x20
	s_wait_kmcnt 0x0
	v_mul_u64_e32 v[4:5], s[20:21], v[2:3]
	v_mul_u64_e32 v[6:7], s[30:31], v[0:1]
	s_load_b32 s30, s[0:1], 0x50
	s_load_b64 s[4:5], s[16:17], s2 offset:0x0 scale_offset
	s_load_b64 s[20:21], s[24:25], s2 offset:0x0 scale_offset
	s_bitcmp1_b32 s33, 0
	s_wait_xcnt 0x0
	s_cselect_b32 s0, -1, 0
	s_delay_alu instid0(SALU_CYCLE_1)
	s_xor_b32 s16, s0, -1
	s_wait_kmcnt 0x0
	s_bitcmp1_b32 s30, 0
	s_cselect_b32 s17, -1, 0
	s_lshl_b64 s[0:1], s[18:19], 3
	s_lshl_b64 s[18:19], s[26:27], 3
	s_add_nc_u64 s[0:1], s[4:5], s[0:1]
	s_add_nc_u64 s[4:5], s[20:21], s[18:19]
	s_delay_alu instid0(VALU_DEP_2) | instskip(NEXT) | instid1(VALU_DEP_2)
	v_lshl_add_u64 v[4:5], v[4:5], 3, s[0:1]
	v_lshl_add_u64 v[8:9], v[6:7], 3, s[4:5]
	s_lshl_b64 s[0:1], s[22:23], 3
	s_lshl_b64 s[4:5], s[28:29], 3
	s_delay_alu instid0(VALU_DEP_2) | instskip(NEXT) | instid1(VALU_DEP_2)
	v_add_nc_u64_e32 v[6:7], 4, v[4:5]
	v_add_nc_u64_e32 v[8:9], 4, v[8:9]
	v_dual_mov_b32 v5, 0 :: v_dual_mov_b32 v4, 0
	s_branch .LBB52_4
.LBB52_3:                               ;   in Loop: Header=BB52_4 Depth=1
	flat_load_b64 v[12:13], v[8:9] offset:-4
	s_wait_xcnt 0x1
	v_add_nc_u64_e32 v[6:7], s[0:1], v[6:7]
	s_wait_xcnt 0x0
	v_add_nc_u64_e32 v[8:9], s[4:5], v[8:9]
	s_add_nc_u64 s[12:13], s[12:13], -1
	s_delay_alu instid0(SALU_CYCLE_1) | instskip(SKIP_2) | instid1(VALU_DEP_1)
	s_cmp_eq_u64 s[12:13], 0
	s_wait_loadcnt_dscnt 0x0
	v_dual_cndmask_b32 v13, v13, -v13, s17 :: v_dual_mul_f32 v14, v11, v12
	v_dual_mul_f32 v11, v11, v13 :: v_dual_fmac_f32 v14, v13, v10
	s_delay_alu instid0(VALU_DEP_1) | instskip(NEXT) | instid1(VALU_DEP_2)
	v_fma_f32 v10, v12, v10, -v11
	v_add_f32_e32 v5, v5, v14
	s_delay_alu instid0(VALU_DEP_2)
	v_add_f32_e32 v4, v4, v10
	s_cbranch_scc1 .LBB52_8
.LBB52_4:                               ; =>This Inner Loop Header: Depth=1
	s_and_b32 vcc_lo, exec_lo, s16
	s_mov_b32 s18, -1
                                        ; implicit-def: $vgpr11
	s_cbranch_vccz .LBB52_6
; %bb.5:                                ;   in Loop: Header=BB52_4 Depth=1
	flat_load_b64 v[10:11], v[6:7] offset:-4
	s_mov_b32 s18, 0
.LBB52_6:                               ;   in Loop: Header=BB52_4 Depth=1
	s_delay_alu instid0(SALU_CYCLE_1)
	s_and_not1_b32 vcc_lo, exec_lo, s18
	s_cbranch_vccnz .LBB52_3
; %bb.7:                                ;   in Loop: Header=BB52_4 Depth=1
	s_wait_loadcnt_dscnt 0x0
	flat_load_b64 v[10:11], v[6:7] offset:-4
	s_wait_loadcnt_dscnt 0x0
	v_xor_b32_e32 v11, 0x80000000, v11
	s_branch .LBB52_3
.LBB52_8:
	v_mul_u64_e32 v[2:3], s[10:11], v[2:3]
	v_mul_u64_e32 v[0:1], s[36:37], v[0:1]
	s_mul_u64 s[0:1], s[38:39], s[2:3]
	s_lshl_b64 s[2:3], s[8:9], 3
	s_lshl_b64 s[0:1], s[0:1], 3
	v_mov_b64_e32 v[8:9], s[34:35]
	s_add_nc_u64 s[0:1], s[6:7], s[0:1]
	s_wait_kmcnt 0x0
	v_mov_b64_e32 v[10:11], s[14:15]
	s_add_nc_u64 s[0:1], s[0:1], s[2:3]
	v_mov_b32_e32 v6, v5
	s_delay_alu instid0(VALU_DEP_1) | instskip(NEXT) | instid1(VALU_DEP_1)
	v_pk_mul_f32 v[6:7], v[8:9], v[6:7] op_sel:[1,0] op_sel_hi:[0,0]
	v_pk_fma_f32 v[14:15], v[8:9], v[4:5], v[6:7] op_sel_hi:[1,0,1]
	v_pk_fma_f32 v[4:5], v[8:9], v[4:5], v[6:7] neg_lo:[0,0,1] neg_hi:[0,0,1]
	s_delay_alu instid0(VALU_DEP_2) | instskip(SKIP_1) | instid1(VALU_DEP_1)
	v_mov_b32_e32 v5, v15
	v_lshl_add_u64 v[2:3], v[2:3], 3, s[0:1]
	v_lshl_add_u64 v[0:1], v[0:1], 3, v[2:3]
	global_load_b64 v[2:3], v[0:1], off
	s_wait_loadcnt 0x0
	v_pk_mul_f32 v[12:13], v[10:11], v[2:3] op_sel:[1,1] op_sel_hi:[0,1]
	s_delay_alu instid0(VALU_DEP_1) | instskip(SKIP_1) | instid1(VALU_DEP_2)
	v_pk_fma_f32 v[16:17], v[10:11], v[2:3], v[12:13] op_sel_hi:[1,0,1]
	v_pk_fma_f32 v[2:3], v[10:11], v[2:3], v[12:13] neg_lo:[0,0,1] neg_hi:[0,0,1]
	v_mov_b32_e32 v3, v17
	s_delay_alu instid0(VALU_DEP_1)
	v_pk_add_f32 v[2:3], v[4:5], v[2:3]
	global_store_b64 v[0:1], v[2:3], off
.LBB52_9:
	s_endpgm
	.section	.rodata,"a",@progbits
	.p2align	6, 0x0
	.amdhsa_kernel _ZN9rocsolver6v33100L11gemm_kernelI19rocblas_complex_numIfElPKS3_PKPS3_S8_S6_EEvT0_S9_S9_T1_bT2_lS9_S9_lbT3_lS9_S9_lSA_T4_lS9_S9_l
		.amdhsa_group_segment_fixed_size 0
		.amdhsa_private_segment_fixed_size 0
		.amdhsa_kernarg_size 432
		.amdhsa_user_sgpr_count 2
		.amdhsa_user_sgpr_dispatch_ptr 0
		.amdhsa_user_sgpr_queue_ptr 0
		.amdhsa_user_sgpr_kernarg_segment_ptr 1
		.amdhsa_user_sgpr_dispatch_id 0
		.amdhsa_user_sgpr_kernarg_preload_length 0
		.amdhsa_user_sgpr_kernarg_preload_offset 0
		.amdhsa_user_sgpr_private_segment_size 0
		.amdhsa_wavefront_size32 1
		.amdhsa_uses_dynamic_stack 0
		.amdhsa_enable_private_segment 0
		.amdhsa_system_sgpr_workgroup_id_x 1
		.amdhsa_system_sgpr_workgroup_id_y 1
		.amdhsa_system_sgpr_workgroup_id_z 1
		.amdhsa_system_sgpr_workgroup_info 0
		.amdhsa_system_vgpr_workitem_id 1
		.amdhsa_next_free_vgpr 18
		.amdhsa_next_free_sgpr 40
		.amdhsa_named_barrier_count 0
		.amdhsa_reserve_vcc 1
		.amdhsa_float_round_mode_32 0
		.amdhsa_float_round_mode_16_64 0
		.amdhsa_float_denorm_mode_32 3
		.amdhsa_float_denorm_mode_16_64 3
		.amdhsa_fp16_overflow 0
		.amdhsa_memory_ordered 1
		.amdhsa_forward_progress 1
		.amdhsa_inst_pref_size 7
		.amdhsa_round_robin_scheduling 0
		.amdhsa_exception_fp_ieee_invalid_op 0
		.amdhsa_exception_fp_denorm_src 0
		.amdhsa_exception_fp_ieee_div_zero 0
		.amdhsa_exception_fp_ieee_overflow 0
		.amdhsa_exception_fp_ieee_underflow 0
		.amdhsa_exception_fp_ieee_inexact 0
		.amdhsa_exception_int_div_zero 0
	.end_amdhsa_kernel
	.section	.text._ZN9rocsolver6v33100L11gemm_kernelI19rocblas_complex_numIfElPKS3_PKPS3_S8_S6_EEvT0_S9_S9_T1_bT2_lS9_S9_lbT3_lS9_S9_lSA_T4_lS9_S9_l,"axG",@progbits,_ZN9rocsolver6v33100L11gemm_kernelI19rocblas_complex_numIfElPKS3_PKPS3_S8_S6_EEvT0_S9_S9_T1_bT2_lS9_S9_lbT3_lS9_S9_lSA_T4_lS9_S9_l,comdat
.Lfunc_end52:
	.size	_ZN9rocsolver6v33100L11gemm_kernelI19rocblas_complex_numIfElPKS3_PKPS3_S8_S6_EEvT0_S9_S9_T1_bT2_lS9_S9_lbT3_lS9_S9_lSA_T4_lS9_S9_l, .Lfunc_end52-_ZN9rocsolver6v33100L11gemm_kernelI19rocblas_complex_numIfElPKS3_PKPS3_S8_S6_EEvT0_S9_S9_T1_bT2_lS9_S9_lbT3_lS9_S9_lSA_T4_lS9_S9_l
                                        ; -- End function
	.set _ZN9rocsolver6v33100L11gemm_kernelI19rocblas_complex_numIfElPKS3_PKPS3_S8_S6_EEvT0_S9_S9_T1_bT2_lS9_S9_lbT3_lS9_S9_lSA_T4_lS9_S9_l.num_vgpr, 18
	.set _ZN9rocsolver6v33100L11gemm_kernelI19rocblas_complex_numIfElPKS3_PKPS3_S8_S6_EEvT0_S9_S9_T1_bT2_lS9_S9_lbT3_lS9_S9_lSA_T4_lS9_S9_l.num_agpr, 0
	.set _ZN9rocsolver6v33100L11gemm_kernelI19rocblas_complex_numIfElPKS3_PKPS3_S8_S6_EEvT0_S9_S9_T1_bT2_lS9_S9_lbT3_lS9_S9_lSA_T4_lS9_S9_l.numbered_sgpr, 40
	.set _ZN9rocsolver6v33100L11gemm_kernelI19rocblas_complex_numIfElPKS3_PKPS3_S8_S6_EEvT0_S9_S9_T1_bT2_lS9_S9_lbT3_lS9_S9_lSA_T4_lS9_S9_l.num_named_barrier, 0
	.set _ZN9rocsolver6v33100L11gemm_kernelI19rocblas_complex_numIfElPKS3_PKPS3_S8_S6_EEvT0_S9_S9_T1_bT2_lS9_S9_lbT3_lS9_S9_lSA_T4_lS9_S9_l.private_seg_size, 0
	.set _ZN9rocsolver6v33100L11gemm_kernelI19rocblas_complex_numIfElPKS3_PKPS3_S8_S6_EEvT0_S9_S9_T1_bT2_lS9_S9_lbT3_lS9_S9_lSA_T4_lS9_S9_l.uses_vcc, 1
	.set _ZN9rocsolver6v33100L11gemm_kernelI19rocblas_complex_numIfElPKS3_PKPS3_S8_S6_EEvT0_S9_S9_T1_bT2_lS9_S9_lbT3_lS9_S9_lSA_T4_lS9_S9_l.uses_flat_scratch, 0
	.set _ZN9rocsolver6v33100L11gemm_kernelI19rocblas_complex_numIfElPKS3_PKPS3_S8_S6_EEvT0_S9_S9_T1_bT2_lS9_S9_lbT3_lS9_S9_lSA_T4_lS9_S9_l.has_dyn_sized_stack, 0
	.set _ZN9rocsolver6v33100L11gemm_kernelI19rocblas_complex_numIfElPKS3_PKPS3_S8_S6_EEvT0_S9_S9_T1_bT2_lS9_S9_lbT3_lS9_S9_lSA_T4_lS9_S9_l.has_recursion, 0
	.set _ZN9rocsolver6v33100L11gemm_kernelI19rocblas_complex_numIfElPKS3_PKPS3_S8_S6_EEvT0_S9_S9_T1_bT2_lS9_S9_lbT3_lS9_S9_lSA_T4_lS9_S9_l.has_indirect_call, 0
	.section	.AMDGPU.csdata,"",@progbits
; Kernel info:
; codeLenInByte = 792
; TotalNumSgprs: 42
; NumVgprs: 18
; ScratchSize: 0
; MemoryBound: 0
; FloatMode: 240
; IeeeMode: 1
; LDSByteSize: 0 bytes/workgroup (compile time only)
; SGPRBlocks: 0
; VGPRBlocks: 1
; NumSGPRsForWavesPerEU: 42
; NumVGPRsForWavesPerEU: 18
; NamedBarCnt: 0
; Occupancy: 16
; WaveLimiterHint : 0
; COMPUTE_PGM_RSRC2:SCRATCH_EN: 0
; COMPUTE_PGM_RSRC2:USER_SGPR: 2
; COMPUTE_PGM_RSRC2:TRAP_HANDLER: 0
; COMPUTE_PGM_RSRC2:TGID_X_EN: 1
; COMPUTE_PGM_RSRC2:TGID_Y_EN: 1
; COMPUTE_PGM_RSRC2:TGID_Z_EN: 1
; COMPUTE_PGM_RSRC2:TIDIG_COMP_CNT: 1
	.section	.text._ZN9rocsolver6v33100L11gemm_kernelI19rocblas_complex_numIfElS3_PKPS3_S6_S4_EEvT0_S7_S7_T1_bT2_lS7_S7_lbT3_lS7_S7_lS8_T4_lS7_S7_l,"axG",@progbits,_ZN9rocsolver6v33100L11gemm_kernelI19rocblas_complex_numIfElS3_PKPS3_S6_S4_EEvT0_S7_S7_T1_bT2_lS7_S7_lbT3_lS7_S7_lS8_T4_lS7_S7_l,comdat
	.globl	_ZN9rocsolver6v33100L11gemm_kernelI19rocblas_complex_numIfElS3_PKPS3_S6_S4_EEvT0_S7_S7_T1_bT2_lS7_S7_lbT3_lS7_S7_lS8_T4_lS7_S7_l ; -- Begin function _ZN9rocsolver6v33100L11gemm_kernelI19rocblas_complex_numIfElS3_PKPS3_S6_S4_EEvT0_S7_S7_T1_bT2_lS7_S7_lbT3_lS7_S7_lS8_T4_lS7_S7_l
	.p2align	8
	.type	_ZN9rocsolver6v33100L11gemm_kernelI19rocblas_complex_numIfElS3_PKPS3_S6_S4_EEvT0_S7_S7_T1_bT2_lS7_S7_lbT3_lS7_S7_lS8_T4_lS7_S7_l,@function
_ZN9rocsolver6v33100L11gemm_kernelI19rocblas_complex_numIfElS3_PKPS3_S6_S4_EEvT0_S7_S7_T1_bT2_lS7_S7_lbT3_lS7_S7_lS8_T4_lS7_S7_l: ; @_ZN9rocsolver6v33100L11gemm_kernelI19rocblas_complex_numIfElS3_PKPS3_S6_S4_EEvT0_S7_S7_T1_bT2_lS7_S7_lbT3_lS7_S7_lS8_T4_lS7_S7_l
; %bb.0:
	s_clause 0x1
	s_load_b32 s2, s[0:1], 0xbc
	s_load_b128 s[8:11], s[0:1], 0x0
	s_bfe_u32 s5, ttmp6, 0x40010
	s_bfe_u32 s12, ttmp6, 0x4000c
	s_and_b32 s3, ttmp7, 0xffff
	s_add_co_i32 s5, s5, 1
	s_add_co_i32 s12, s12, 1
	s_bfe_u32 s6, ttmp6, 0x40004
	s_and_b32 s7, ttmp6, 15
	s_mul_i32 s5, s3, s5
	s_mul_i32 s12, ttmp9, s12
	s_getreg_b32 s4, hwreg(HW_REG_IB_STS2, 6, 4)
	v_mov_b32_e32 v5, 0
	v_and_b32_e32 v4, 0x3ff, v0
	s_add_co_i32 s6, s6, s5
	s_add_co_i32 s7, s7, s12
	s_mov_b32 s25, 0
	s_wait_kmcnt 0x0
	s_lshr_b32 s5, s2, 16
	s_and_b32 s2, s2, 0xffff
	s_cmp_eq_u32 s4, 0
	s_cselect_b32 s7, ttmp9, s7
	s_delay_alu instid0(SALU_CYCLE_1)
	v_mad_nc_u64_u32 v[2:3], s2, s7, v[4:5]
	v_bfe_u32 v4, v0, 10, 10
	s_cselect_b32 s2, s3, s6
	s_delay_alu instid0(VALU_DEP_1) | instid1(SALU_CYCLE_1)
	v_mad_nc_u64_u32 v[0:1], s5, s2, v[4:5]
	s_delay_alu instid0(VALU_DEP_3) | instskip(NEXT) | instid1(VALU_DEP_2)
	v_cmp_gt_i64_e32 vcc_lo, s[8:9], v[2:3]
	v_cmp_gt_i64_e64 s2, s[10:11], v[0:1]
	s_and_b32 s2, vcc_lo, s2
	s_delay_alu instid0(SALU_CYCLE_1)
	s_and_saveexec_b32 s3, s2
	s_cbranch_execz .LBB53_9
; %bb.1:
	s_clause 0x2
	s_load_b64 s[26:27], s[0:1], 0x10
	s_load_b96 s[20:22], s[0:1], 0x18
	s_load_b64 s[2:3], s[0:1], 0x80
	s_bfe_u32 s6, ttmp6, 0x40014
	s_lshr_b32 s5, ttmp7, 16
	s_add_co_i32 s6, s6, 1
	s_bfe_u32 s7, ttmp6, 0x40008
	s_mul_i32 s6, s5, s6
	v_mov_b32_e32 v4, 0
	s_add_co_i32 s7, s7, s6
	s_cmp_eq_u32 s4, 0
	s_cselect_b32 s24, s5, s7
	s_wait_kmcnt 0x0
	v_cmp_lt_i64_e64 s8, s[26:27], 1
	s_and_b32 vcc_lo, exec_lo, s8
	s_cbranch_vccnz .LBB53_8
; %bb.2:
	s_clause 0x1
	s_load_b256 s[4:11], s[0:1], 0x28
	s_load_b256 s[12:19], s[0:1], 0x58
	s_bitcmp1_b32 s22, 0
	s_wait_kmcnt 0x0
	v_mul_u64_e32 v[4:5], s[8:9], v[2:3]
	v_mul_u64_e32 v[6:7], s[18:19], v[0:1]
	s_load_b32 s9, s[0:1], 0x50
	s_load_b64 s[18:19], s[4:5], s24 offset:0x0 scale_offset
	s_load_b64 s[28:29], s[12:13], s24 offset:0x0 scale_offset
	s_wait_xcnt 0x0
	s_cselect_b32 s4, -1, 0
	s_delay_alu instid0(SALU_CYCLE_1)
	s_xor_b32 s8, s4, -1
	s_wait_kmcnt 0x0
	s_bitcmp1_b32 s9, 0
	s_cselect_b32 s9, -1, 0
	s_lshl_b64 s[4:5], s[6:7], 3
	s_lshl_b64 s[6:7], s[14:15], 3
	s_add_nc_u64 s[4:5], s[18:19], s[4:5]
	s_add_nc_u64 s[6:7], s[28:29], s[6:7]
	s_delay_alu instid0(VALU_DEP_2) | instskip(NEXT) | instid1(VALU_DEP_2)
	v_lshl_add_u64 v[4:5], v[4:5], 3, s[4:5]
	v_lshl_add_u64 v[8:9], v[6:7], 3, s[6:7]
	s_lshl_b64 s[4:5], s[10:11], 3
	s_lshl_b64 s[6:7], s[16:17], 3
	s_delay_alu instid0(VALU_DEP_2) | instskip(NEXT) | instid1(VALU_DEP_2)
	v_add_nc_u64_e32 v[6:7], 4, v[4:5]
	v_add_nc_u64_e32 v[8:9], 4, v[8:9]
	v_dual_mov_b32 v5, 0 :: v_dual_mov_b32 v4, 0
	s_branch .LBB53_4
.LBB53_3:                               ;   in Loop: Header=BB53_4 Depth=1
	flat_load_b64 v[12:13], v[8:9] offset:-4
	s_wait_xcnt 0x1
	v_add_nc_u64_e32 v[6:7], s[4:5], v[6:7]
	s_wait_xcnt 0x0
	v_add_nc_u64_e32 v[8:9], s[6:7], v[8:9]
	s_add_nc_u64 s[26:27], s[26:27], -1
	s_delay_alu instid0(SALU_CYCLE_1) | instskip(SKIP_2) | instid1(VALU_DEP_1)
	s_cmp_eq_u64 s[26:27], 0
	s_wait_loadcnt_dscnt 0x0
	v_dual_cndmask_b32 v13, v13, -v13, s9 :: v_dual_mul_f32 v14, v11, v12
	v_dual_mul_f32 v11, v11, v13 :: v_dual_fmac_f32 v14, v13, v10
	s_delay_alu instid0(VALU_DEP_1) | instskip(NEXT) | instid1(VALU_DEP_2)
	v_fma_f32 v10, v12, v10, -v11
	v_add_f32_e32 v5, v5, v14
	s_delay_alu instid0(VALU_DEP_2)
	v_add_f32_e32 v4, v4, v10
	s_cbranch_scc1 .LBB53_8
.LBB53_4:                               ; =>This Inner Loop Header: Depth=1
	s_and_b32 vcc_lo, exec_lo, s8
	s_mov_b32 s10, -1
                                        ; implicit-def: $vgpr11
	s_cbranch_vccz .LBB53_6
; %bb.5:                                ;   in Loop: Header=BB53_4 Depth=1
	flat_load_b64 v[10:11], v[6:7] offset:-4
	s_mov_b32 s10, 0
.LBB53_6:                               ;   in Loop: Header=BB53_4 Depth=1
	s_delay_alu instid0(SALU_CYCLE_1)
	s_and_not1_b32 vcc_lo, exec_lo, s10
	s_cbranch_vccnz .LBB53_3
; %bb.7:                                ;   in Loop: Header=BB53_4 Depth=1
	s_wait_loadcnt_dscnt 0x0
	flat_load_b64 v[10:11], v[6:7] offset:-4
	s_wait_loadcnt_dscnt 0x0
	v_xor_b32_e32 v11, 0x80000000, v11
	s_branch .LBB53_3
.LBB53_8:
	s_load_b256 s[4:11], s[0:1], 0x88
	v_mov_b64_e32 v[8:9], s[20:21]
	s_wait_xcnt 0x0
	s_load_b64 s[0:1], s[0:1], 0xa8
	v_mov_b64_e32 v[10:11], s[2:3]
	v_mov_b32_e32 v6, v5
	s_delay_alu instid0(VALU_DEP_1) | instskip(NEXT) | instid1(VALU_DEP_1)
	v_pk_mul_f32 v[6:7], v[8:9], v[6:7] op_sel:[1,0] op_sel_hi:[0,0]
	v_pk_fma_f32 v[14:15], v[8:9], v[4:5], v[6:7] op_sel_hi:[1,0,1]
	v_pk_fma_f32 v[4:5], v[8:9], v[4:5], v[6:7] neg_lo:[0,0,1] neg_hi:[0,0,1]
	s_delay_alu instid0(VALU_DEP_2) | instskip(SKIP_4) | instid1(SALU_CYCLE_1)
	v_mov_b32_e32 v5, v15
	s_wait_kmcnt 0x0
	v_mul_u64_e32 v[2:3], s[8:9], v[2:3]
	v_mul_u64_e32 v[0:1], s[10:11], v[0:1]
	s_mul_u64 s[0:1], s[0:1], s[24:25]
	s_lshl_b64 s[0:1], s[0:1], 3
	s_delay_alu instid0(SALU_CYCLE_1) | instskip(SKIP_1) | instid1(SALU_CYCLE_1)
	s_add_nc_u64 s[0:1], s[4:5], s[0:1]
	s_lshl_b64 s[4:5], s[6:7], 3
	s_add_nc_u64 s[0:1], s[0:1], s[4:5]
	s_delay_alu instid0(VALU_DEP_2) | instid1(SALU_CYCLE_1)
	v_lshl_add_u64 v[2:3], v[2:3], 3, s[0:1]
	s_delay_alu instid0(VALU_DEP_1) | instskip(SKIP_3) | instid1(VALU_DEP_1)
	v_lshl_add_u64 v[0:1], v[0:1], 3, v[2:3]
	global_load_b64 v[2:3], v[0:1], off
	s_wait_loadcnt 0x0
	v_pk_mul_f32 v[12:13], v[10:11], v[2:3] op_sel:[1,1] op_sel_hi:[0,1]
	v_pk_fma_f32 v[16:17], v[10:11], v[2:3], v[12:13] op_sel_hi:[1,0,1]
	v_pk_fma_f32 v[2:3], v[10:11], v[2:3], v[12:13] neg_lo:[0,0,1] neg_hi:[0,0,1]
	s_delay_alu instid0(VALU_DEP_2) | instskip(NEXT) | instid1(VALU_DEP_1)
	v_mov_b32_e32 v3, v17
	v_pk_add_f32 v[2:3], v[4:5], v[2:3]
	global_store_b64 v[0:1], v[2:3], off
.LBB53_9:
	s_endpgm
	.section	.rodata,"a",@progbits
	.p2align	6, 0x0
	.amdhsa_kernel _ZN9rocsolver6v33100L11gemm_kernelI19rocblas_complex_numIfElS3_PKPS3_S6_S4_EEvT0_S7_S7_T1_bT2_lS7_S7_lbT3_lS7_S7_lS8_T4_lS7_S7_l
		.amdhsa_group_segment_fixed_size 0
		.amdhsa_private_segment_fixed_size 0
		.amdhsa_kernarg_size 432
		.amdhsa_user_sgpr_count 2
		.amdhsa_user_sgpr_dispatch_ptr 0
		.amdhsa_user_sgpr_queue_ptr 0
		.amdhsa_user_sgpr_kernarg_segment_ptr 1
		.amdhsa_user_sgpr_dispatch_id 0
		.amdhsa_user_sgpr_kernarg_preload_length 0
		.amdhsa_user_sgpr_kernarg_preload_offset 0
		.amdhsa_user_sgpr_private_segment_size 0
		.amdhsa_wavefront_size32 1
		.amdhsa_uses_dynamic_stack 0
		.amdhsa_enable_private_segment 0
		.amdhsa_system_sgpr_workgroup_id_x 1
		.amdhsa_system_sgpr_workgroup_id_y 1
		.amdhsa_system_sgpr_workgroup_id_z 1
		.amdhsa_system_sgpr_workgroup_info 0
		.amdhsa_system_vgpr_workitem_id 1
		.amdhsa_next_free_vgpr 18
		.amdhsa_next_free_sgpr 30
		.amdhsa_named_barrier_count 0
		.amdhsa_reserve_vcc 1
		.amdhsa_float_round_mode_32 0
		.amdhsa_float_round_mode_16_64 0
		.amdhsa_float_denorm_mode_32 3
		.amdhsa_float_denorm_mode_16_64 3
		.amdhsa_fp16_overflow 0
		.amdhsa_memory_ordered 1
		.amdhsa_forward_progress 1
		.amdhsa_inst_pref_size 7
		.amdhsa_round_robin_scheduling 0
		.amdhsa_exception_fp_ieee_invalid_op 0
		.amdhsa_exception_fp_denorm_src 0
		.amdhsa_exception_fp_ieee_div_zero 0
		.amdhsa_exception_fp_ieee_overflow 0
		.amdhsa_exception_fp_ieee_underflow 0
		.amdhsa_exception_fp_ieee_inexact 0
		.amdhsa_exception_int_div_zero 0
	.end_amdhsa_kernel
	.section	.text._ZN9rocsolver6v33100L11gemm_kernelI19rocblas_complex_numIfElS3_PKPS3_S6_S4_EEvT0_S7_S7_T1_bT2_lS7_S7_lbT3_lS7_S7_lS8_T4_lS7_S7_l,"axG",@progbits,_ZN9rocsolver6v33100L11gemm_kernelI19rocblas_complex_numIfElS3_PKPS3_S6_S4_EEvT0_S7_S7_T1_bT2_lS7_S7_lbT3_lS7_S7_lS8_T4_lS7_S7_l,comdat
.Lfunc_end53:
	.size	_ZN9rocsolver6v33100L11gemm_kernelI19rocblas_complex_numIfElS3_PKPS3_S6_S4_EEvT0_S7_S7_T1_bT2_lS7_S7_lbT3_lS7_S7_lS8_T4_lS7_S7_l, .Lfunc_end53-_ZN9rocsolver6v33100L11gemm_kernelI19rocblas_complex_numIfElS3_PKPS3_S6_S4_EEvT0_S7_S7_T1_bT2_lS7_S7_lbT3_lS7_S7_lS8_T4_lS7_S7_l
                                        ; -- End function
	.set _ZN9rocsolver6v33100L11gemm_kernelI19rocblas_complex_numIfElS3_PKPS3_S6_S4_EEvT0_S7_S7_T1_bT2_lS7_S7_lbT3_lS7_S7_lS8_T4_lS7_S7_l.num_vgpr, 18
	.set _ZN9rocsolver6v33100L11gemm_kernelI19rocblas_complex_numIfElS3_PKPS3_S6_S4_EEvT0_S7_S7_T1_bT2_lS7_S7_lbT3_lS7_S7_lS8_T4_lS7_S7_l.num_agpr, 0
	.set _ZN9rocsolver6v33100L11gemm_kernelI19rocblas_complex_numIfElS3_PKPS3_S6_S4_EEvT0_S7_S7_T1_bT2_lS7_S7_lbT3_lS7_S7_lS8_T4_lS7_S7_l.numbered_sgpr, 30
	.set _ZN9rocsolver6v33100L11gemm_kernelI19rocblas_complex_numIfElS3_PKPS3_S6_S4_EEvT0_S7_S7_T1_bT2_lS7_S7_lbT3_lS7_S7_lS8_T4_lS7_S7_l.num_named_barrier, 0
	.set _ZN9rocsolver6v33100L11gemm_kernelI19rocblas_complex_numIfElS3_PKPS3_S6_S4_EEvT0_S7_S7_T1_bT2_lS7_S7_lbT3_lS7_S7_lS8_T4_lS7_S7_l.private_seg_size, 0
	.set _ZN9rocsolver6v33100L11gemm_kernelI19rocblas_complex_numIfElS3_PKPS3_S6_S4_EEvT0_S7_S7_T1_bT2_lS7_S7_lbT3_lS7_S7_lS8_T4_lS7_S7_l.uses_vcc, 1
	.set _ZN9rocsolver6v33100L11gemm_kernelI19rocblas_complex_numIfElS3_PKPS3_S6_S4_EEvT0_S7_S7_T1_bT2_lS7_S7_lbT3_lS7_S7_lS8_T4_lS7_S7_l.uses_flat_scratch, 0
	.set _ZN9rocsolver6v33100L11gemm_kernelI19rocblas_complex_numIfElS3_PKPS3_S6_S4_EEvT0_S7_S7_T1_bT2_lS7_S7_lbT3_lS7_S7_lS8_T4_lS7_S7_l.has_dyn_sized_stack, 0
	.set _ZN9rocsolver6v33100L11gemm_kernelI19rocblas_complex_numIfElS3_PKPS3_S6_S4_EEvT0_S7_S7_T1_bT2_lS7_S7_lbT3_lS7_S7_lS8_T4_lS7_S7_l.has_recursion, 0
	.set _ZN9rocsolver6v33100L11gemm_kernelI19rocblas_complex_numIfElS3_PKPS3_S6_S4_EEvT0_S7_S7_T1_bT2_lS7_S7_lbT3_lS7_S7_lS8_T4_lS7_S7_l.has_indirect_call, 0
	.section	.AMDGPU.csdata,"",@progbits
; Kernel info:
; codeLenInByte = 804
; TotalNumSgprs: 32
; NumVgprs: 18
; ScratchSize: 0
; MemoryBound: 0
; FloatMode: 240
; IeeeMode: 1
; LDSByteSize: 0 bytes/workgroup (compile time only)
; SGPRBlocks: 0
; VGPRBlocks: 1
; NumSGPRsForWavesPerEU: 32
; NumVGPRsForWavesPerEU: 18
; NamedBarCnt: 0
; Occupancy: 16
; WaveLimiterHint : 1
; COMPUTE_PGM_RSRC2:SCRATCH_EN: 0
; COMPUTE_PGM_RSRC2:USER_SGPR: 2
; COMPUTE_PGM_RSRC2:TRAP_HANDLER: 0
; COMPUTE_PGM_RSRC2:TGID_X_EN: 1
; COMPUTE_PGM_RSRC2:TGID_Y_EN: 1
; COMPUTE_PGM_RSRC2:TGID_Z_EN: 1
; COMPUTE_PGM_RSRC2:TIDIG_COMP_CNT: 1
	.section	.text._ZN9rocsolver6v33100L16mfma_gemm_kernelI19rocblas_complex_numIfElPKS3_PKPS3_S6_S6_EEv18rocblas_operation_S9_T0_SA_SA_T1_T2_lSA_SA_lT3_lSA_SA_lSB_T4_lSA_SA_l,"axG",@progbits,_ZN9rocsolver6v33100L16mfma_gemm_kernelI19rocblas_complex_numIfElPKS3_PKPS3_S6_S6_EEv18rocblas_operation_S9_T0_SA_SA_T1_T2_lSA_SA_lT3_lSA_SA_lSB_T4_lSA_SA_l,comdat
	.globl	_ZN9rocsolver6v33100L16mfma_gemm_kernelI19rocblas_complex_numIfElPKS3_PKPS3_S6_S6_EEv18rocblas_operation_S9_T0_SA_SA_T1_T2_lSA_SA_lT3_lSA_SA_lSB_T4_lSA_SA_l ; -- Begin function _ZN9rocsolver6v33100L16mfma_gemm_kernelI19rocblas_complex_numIfElPKS3_PKPS3_S6_S6_EEv18rocblas_operation_S9_T0_SA_SA_T1_T2_lSA_SA_lT3_lSA_SA_lSB_T4_lSA_SA_l
	.p2align	8
	.type	_ZN9rocsolver6v33100L16mfma_gemm_kernelI19rocblas_complex_numIfElPKS3_PKPS3_S6_S6_EEv18rocblas_operation_S9_T0_SA_SA_T1_T2_lSA_SA_lT3_lSA_SA_lSB_T4_lSA_SA_l,@function
_ZN9rocsolver6v33100L16mfma_gemm_kernelI19rocblas_complex_numIfElPKS3_PKPS3_S6_S6_EEv18rocblas_operation_S9_T0_SA_SA_T1_T2_lSA_SA_lT3_lSA_SA_lSB_T4_lSA_SA_l: ; @_ZN9rocsolver6v33100L16mfma_gemm_kernelI19rocblas_complex_numIfElPKS3_PKPS3_S6_S6_EEv18rocblas_operation_S9_T0_SA_SA_T1_T2_lSA_SA_lT3_lSA_SA_lSB_T4_lSA_SA_l
; %bb.0:
	s_endpgm
	.section	.rodata,"a",@progbits
	.p2align	6, 0x0
	.amdhsa_kernel _ZN9rocsolver6v33100L16mfma_gemm_kernelI19rocblas_complex_numIfElPKS3_PKPS3_S6_S6_EEv18rocblas_operation_S9_T0_SA_SA_T1_T2_lSA_SA_lT3_lSA_SA_lSB_T4_lSA_SA_l
		.amdhsa_group_segment_fixed_size 0
		.amdhsa_private_segment_fixed_size 0
		.amdhsa_kernarg_size 168
		.amdhsa_user_sgpr_count 2
		.amdhsa_user_sgpr_dispatch_ptr 0
		.amdhsa_user_sgpr_queue_ptr 0
		.amdhsa_user_sgpr_kernarg_segment_ptr 1
		.amdhsa_user_sgpr_dispatch_id 0
		.amdhsa_user_sgpr_kernarg_preload_length 0
		.amdhsa_user_sgpr_kernarg_preload_offset 0
		.amdhsa_user_sgpr_private_segment_size 0
		.amdhsa_wavefront_size32 1
		.amdhsa_uses_dynamic_stack 0
		.amdhsa_enable_private_segment 0
		.amdhsa_system_sgpr_workgroup_id_x 1
		.amdhsa_system_sgpr_workgroup_id_y 0
		.amdhsa_system_sgpr_workgroup_id_z 0
		.amdhsa_system_sgpr_workgroup_info 0
		.amdhsa_system_vgpr_workitem_id 0
		.amdhsa_next_free_vgpr 1
		.amdhsa_next_free_sgpr 1
		.amdhsa_named_barrier_count 0
		.amdhsa_reserve_vcc 0
		.amdhsa_float_round_mode_32 0
		.amdhsa_float_round_mode_16_64 0
		.amdhsa_float_denorm_mode_32 3
		.amdhsa_float_denorm_mode_16_64 3
		.amdhsa_fp16_overflow 0
		.amdhsa_memory_ordered 1
		.amdhsa_forward_progress 1
		.amdhsa_inst_pref_size 1
		.amdhsa_round_robin_scheduling 0
		.amdhsa_exception_fp_ieee_invalid_op 0
		.amdhsa_exception_fp_denorm_src 0
		.amdhsa_exception_fp_ieee_div_zero 0
		.amdhsa_exception_fp_ieee_overflow 0
		.amdhsa_exception_fp_ieee_underflow 0
		.amdhsa_exception_fp_ieee_inexact 0
		.amdhsa_exception_int_div_zero 0
	.end_amdhsa_kernel
	.section	.text._ZN9rocsolver6v33100L16mfma_gemm_kernelI19rocblas_complex_numIfElPKS3_PKPS3_S6_S6_EEv18rocblas_operation_S9_T0_SA_SA_T1_T2_lSA_SA_lT3_lSA_SA_lSB_T4_lSA_SA_l,"axG",@progbits,_ZN9rocsolver6v33100L16mfma_gemm_kernelI19rocblas_complex_numIfElPKS3_PKPS3_S6_S6_EEv18rocblas_operation_S9_T0_SA_SA_T1_T2_lSA_SA_lT3_lSA_SA_lSB_T4_lSA_SA_l,comdat
.Lfunc_end54:
	.size	_ZN9rocsolver6v33100L16mfma_gemm_kernelI19rocblas_complex_numIfElPKS3_PKPS3_S6_S6_EEv18rocblas_operation_S9_T0_SA_SA_T1_T2_lSA_SA_lT3_lSA_SA_lSB_T4_lSA_SA_l, .Lfunc_end54-_ZN9rocsolver6v33100L16mfma_gemm_kernelI19rocblas_complex_numIfElPKS3_PKPS3_S6_S6_EEv18rocblas_operation_S9_T0_SA_SA_T1_T2_lSA_SA_lT3_lSA_SA_lSB_T4_lSA_SA_l
                                        ; -- End function
	.set _ZN9rocsolver6v33100L16mfma_gemm_kernelI19rocblas_complex_numIfElPKS3_PKPS3_S6_S6_EEv18rocblas_operation_S9_T0_SA_SA_T1_T2_lSA_SA_lT3_lSA_SA_lSB_T4_lSA_SA_l.num_vgpr, 0
	.set _ZN9rocsolver6v33100L16mfma_gemm_kernelI19rocblas_complex_numIfElPKS3_PKPS3_S6_S6_EEv18rocblas_operation_S9_T0_SA_SA_T1_T2_lSA_SA_lT3_lSA_SA_lSB_T4_lSA_SA_l.num_agpr, 0
	.set _ZN9rocsolver6v33100L16mfma_gemm_kernelI19rocblas_complex_numIfElPKS3_PKPS3_S6_S6_EEv18rocblas_operation_S9_T0_SA_SA_T1_T2_lSA_SA_lT3_lSA_SA_lSB_T4_lSA_SA_l.numbered_sgpr, 0
	.set _ZN9rocsolver6v33100L16mfma_gemm_kernelI19rocblas_complex_numIfElPKS3_PKPS3_S6_S6_EEv18rocblas_operation_S9_T0_SA_SA_T1_T2_lSA_SA_lT3_lSA_SA_lSB_T4_lSA_SA_l.num_named_barrier, 0
	.set _ZN9rocsolver6v33100L16mfma_gemm_kernelI19rocblas_complex_numIfElPKS3_PKPS3_S6_S6_EEv18rocblas_operation_S9_T0_SA_SA_T1_T2_lSA_SA_lT3_lSA_SA_lSB_T4_lSA_SA_l.private_seg_size, 0
	.set _ZN9rocsolver6v33100L16mfma_gemm_kernelI19rocblas_complex_numIfElPKS3_PKPS3_S6_S6_EEv18rocblas_operation_S9_T0_SA_SA_T1_T2_lSA_SA_lT3_lSA_SA_lSB_T4_lSA_SA_l.uses_vcc, 0
	.set _ZN9rocsolver6v33100L16mfma_gemm_kernelI19rocblas_complex_numIfElPKS3_PKPS3_S6_S6_EEv18rocblas_operation_S9_T0_SA_SA_T1_T2_lSA_SA_lT3_lSA_SA_lSB_T4_lSA_SA_l.uses_flat_scratch, 0
	.set _ZN9rocsolver6v33100L16mfma_gemm_kernelI19rocblas_complex_numIfElPKS3_PKPS3_S6_S6_EEv18rocblas_operation_S9_T0_SA_SA_T1_T2_lSA_SA_lT3_lSA_SA_lSB_T4_lSA_SA_l.has_dyn_sized_stack, 0
	.set _ZN9rocsolver6v33100L16mfma_gemm_kernelI19rocblas_complex_numIfElPKS3_PKPS3_S6_S6_EEv18rocblas_operation_S9_T0_SA_SA_T1_T2_lSA_SA_lT3_lSA_SA_lSB_T4_lSA_SA_l.has_recursion, 0
	.set _ZN9rocsolver6v33100L16mfma_gemm_kernelI19rocblas_complex_numIfElPKS3_PKPS3_S6_S6_EEv18rocblas_operation_S9_T0_SA_SA_T1_T2_lSA_SA_lT3_lSA_SA_lSB_T4_lSA_SA_l.has_indirect_call, 0
	.section	.AMDGPU.csdata,"",@progbits
; Kernel info:
; codeLenInByte = 4
; TotalNumSgprs: 0
; NumVgprs: 0
; ScratchSize: 0
; MemoryBound: 0
; FloatMode: 240
; IeeeMode: 1
; LDSByteSize: 0 bytes/workgroup (compile time only)
; SGPRBlocks: 0
; VGPRBlocks: 0
; NumSGPRsForWavesPerEU: 1
; NumVGPRsForWavesPerEU: 1
; NamedBarCnt: 0
; Occupancy: 16
; WaveLimiterHint : 0
; COMPUTE_PGM_RSRC2:SCRATCH_EN: 0
; COMPUTE_PGM_RSRC2:USER_SGPR: 2
; COMPUTE_PGM_RSRC2:TRAP_HANDLER: 0
; COMPUTE_PGM_RSRC2:TGID_X_EN: 1
; COMPUTE_PGM_RSRC2:TGID_Y_EN: 0
; COMPUTE_PGM_RSRC2:TGID_Z_EN: 0
; COMPUTE_PGM_RSRC2:TIDIG_COMP_CNT: 0
	.section	.text._ZN9rocsolver6v33100L16mfma_gemm_kernelI19rocblas_complex_numIfElS3_PKPS3_S4_S4_EEv18rocblas_operation_S7_T0_S8_S8_T1_T2_lS8_S8_lT3_lS8_S8_lS9_T4_lS8_S8_l,"axG",@progbits,_ZN9rocsolver6v33100L16mfma_gemm_kernelI19rocblas_complex_numIfElS3_PKPS3_S4_S4_EEv18rocblas_operation_S7_T0_S8_S8_T1_T2_lS8_S8_lT3_lS8_S8_lS9_T4_lS8_S8_l,comdat
	.globl	_ZN9rocsolver6v33100L16mfma_gemm_kernelI19rocblas_complex_numIfElS3_PKPS3_S4_S4_EEv18rocblas_operation_S7_T0_S8_S8_T1_T2_lS8_S8_lT3_lS8_S8_lS9_T4_lS8_S8_l ; -- Begin function _ZN9rocsolver6v33100L16mfma_gemm_kernelI19rocblas_complex_numIfElS3_PKPS3_S4_S4_EEv18rocblas_operation_S7_T0_S8_S8_T1_T2_lS8_S8_lT3_lS8_S8_lS9_T4_lS8_S8_l
	.p2align	8
	.type	_ZN9rocsolver6v33100L16mfma_gemm_kernelI19rocblas_complex_numIfElS3_PKPS3_S4_S4_EEv18rocblas_operation_S7_T0_S8_S8_T1_T2_lS8_S8_lT3_lS8_S8_lS9_T4_lS8_S8_l,@function
_ZN9rocsolver6v33100L16mfma_gemm_kernelI19rocblas_complex_numIfElS3_PKPS3_S4_S4_EEv18rocblas_operation_S7_T0_S8_S8_T1_T2_lS8_S8_lT3_lS8_S8_lS9_T4_lS8_S8_l: ; @_ZN9rocsolver6v33100L16mfma_gemm_kernelI19rocblas_complex_numIfElS3_PKPS3_S4_S4_EEv18rocblas_operation_S7_T0_S8_S8_T1_T2_lS8_S8_lT3_lS8_S8_lS9_T4_lS8_S8_l
; %bb.0:
	s_endpgm
	.section	.rodata,"a",@progbits
	.p2align	6, 0x0
	.amdhsa_kernel _ZN9rocsolver6v33100L16mfma_gemm_kernelI19rocblas_complex_numIfElS3_PKPS3_S4_S4_EEv18rocblas_operation_S7_T0_S8_S8_T1_T2_lS8_S8_lT3_lS8_S8_lS9_T4_lS8_S8_l
		.amdhsa_group_segment_fixed_size 0
		.amdhsa_private_segment_fixed_size 0
		.amdhsa_kernarg_size 168
		.amdhsa_user_sgpr_count 2
		.amdhsa_user_sgpr_dispatch_ptr 0
		.amdhsa_user_sgpr_queue_ptr 0
		.amdhsa_user_sgpr_kernarg_segment_ptr 1
		.amdhsa_user_sgpr_dispatch_id 0
		.amdhsa_user_sgpr_kernarg_preload_length 0
		.amdhsa_user_sgpr_kernarg_preload_offset 0
		.amdhsa_user_sgpr_private_segment_size 0
		.amdhsa_wavefront_size32 1
		.amdhsa_uses_dynamic_stack 0
		.amdhsa_enable_private_segment 0
		.amdhsa_system_sgpr_workgroup_id_x 1
		.amdhsa_system_sgpr_workgroup_id_y 0
		.amdhsa_system_sgpr_workgroup_id_z 0
		.amdhsa_system_sgpr_workgroup_info 0
		.amdhsa_system_vgpr_workitem_id 0
		.amdhsa_next_free_vgpr 1
		.amdhsa_next_free_sgpr 1
		.amdhsa_named_barrier_count 0
		.amdhsa_reserve_vcc 0
		.amdhsa_float_round_mode_32 0
		.amdhsa_float_round_mode_16_64 0
		.amdhsa_float_denorm_mode_32 3
		.amdhsa_float_denorm_mode_16_64 3
		.amdhsa_fp16_overflow 0
		.amdhsa_memory_ordered 1
		.amdhsa_forward_progress 1
		.amdhsa_inst_pref_size 1
		.amdhsa_round_robin_scheduling 0
		.amdhsa_exception_fp_ieee_invalid_op 0
		.amdhsa_exception_fp_denorm_src 0
		.amdhsa_exception_fp_ieee_div_zero 0
		.amdhsa_exception_fp_ieee_overflow 0
		.amdhsa_exception_fp_ieee_underflow 0
		.amdhsa_exception_fp_ieee_inexact 0
		.amdhsa_exception_int_div_zero 0
	.end_amdhsa_kernel
	.section	.text._ZN9rocsolver6v33100L16mfma_gemm_kernelI19rocblas_complex_numIfElS3_PKPS3_S4_S4_EEv18rocblas_operation_S7_T0_S8_S8_T1_T2_lS8_S8_lT3_lS8_S8_lS9_T4_lS8_S8_l,"axG",@progbits,_ZN9rocsolver6v33100L16mfma_gemm_kernelI19rocblas_complex_numIfElS3_PKPS3_S4_S4_EEv18rocblas_operation_S7_T0_S8_S8_T1_T2_lS8_S8_lT3_lS8_S8_lS9_T4_lS8_S8_l,comdat
.Lfunc_end55:
	.size	_ZN9rocsolver6v33100L16mfma_gemm_kernelI19rocblas_complex_numIfElS3_PKPS3_S4_S4_EEv18rocblas_operation_S7_T0_S8_S8_T1_T2_lS8_S8_lT3_lS8_S8_lS9_T4_lS8_S8_l, .Lfunc_end55-_ZN9rocsolver6v33100L16mfma_gemm_kernelI19rocblas_complex_numIfElS3_PKPS3_S4_S4_EEv18rocblas_operation_S7_T0_S8_S8_T1_T2_lS8_S8_lT3_lS8_S8_lS9_T4_lS8_S8_l
                                        ; -- End function
	.set _ZN9rocsolver6v33100L16mfma_gemm_kernelI19rocblas_complex_numIfElS3_PKPS3_S4_S4_EEv18rocblas_operation_S7_T0_S8_S8_T1_T2_lS8_S8_lT3_lS8_S8_lS9_T4_lS8_S8_l.num_vgpr, 0
	.set _ZN9rocsolver6v33100L16mfma_gemm_kernelI19rocblas_complex_numIfElS3_PKPS3_S4_S4_EEv18rocblas_operation_S7_T0_S8_S8_T1_T2_lS8_S8_lT3_lS8_S8_lS9_T4_lS8_S8_l.num_agpr, 0
	.set _ZN9rocsolver6v33100L16mfma_gemm_kernelI19rocblas_complex_numIfElS3_PKPS3_S4_S4_EEv18rocblas_operation_S7_T0_S8_S8_T1_T2_lS8_S8_lT3_lS8_S8_lS9_T4_lS8_S8_l.numbered_sgpr, 0
	.set _ZN9rocsolver6v33100L16mfma_gemm_kernelI19rocblas_complex_numIfElS3_PKPS3_S4_S4_EEv18rocblas_operation_S7_T0_S8_S8_T1_T2_lS8_S8_lT3_lS8_S8_lS9_T4_lS8_S8_l.num_named_barrier, 0
	.set _ZN9rocsolver6v33100L16mfma_gemm_kernelI19rocblas_complex_numIfElS3_PKPS3_S4_S4_EEv18rocblas_operation_S7_T0_S8_S8_T1_T2_lS8_S8_lT3_lS8_S8_lS9_T4_lS8_S8_l.private_seg_size, 0
	.set _ZN9rocsolver6v33100L16mfma_gemm_kernelI19rocblas_complex_numIfElS3_PKPS3_S4_S4_EEv18rocblas_operation_S7_T0_S8_S8_T1_T2_lS8_S8_lT3_lS8_S8_lS9_T4_lS8_S8_l.uses_vcc, 0
	.set _ZN9rocsolver6v33100L16mfma_gemm_kernelI19rocblas_complex_numIfElS3_PKPS3_S4_S4_EEv18rocblas_operation_S7_T0_S8_S8_T1_T2_lS8_S8_lT3_lS8_S8_lS9_T4_lS8_S8_l.uses_flat_scratch, 0
	.set _ZN9rocsolver6v33100L16mfma_gemm_kernelI19rocblas_complex_numIfElS3_PKPS3_S4_S4_EEv18rocblas_operation_S7_T0_S8_S8_T1_T2_lS8_S8_lT3_lS8_S8_lS9_T4_lS8_S8_l.has_dyn_sized_stack, 0
	.set _ZN9rocsolver6v33100L16mfma_gemm_kernelI19rocblas_complex_numIfElS3_PKPS3_S4_S4_EEv18rocblas_operation_S7_T0_S8_S8_T1_T2_lS8_S8_lT3_lS8_S8_lS9_T4_lS8_S8_l.has_recursion, 0
	.set _ZN9rocsolver6v33100L16mfma_gemm_kernelI19rocblas_complex_numIfElS3_PKPS3_S4_S4_EEv18rocblas_operation_S7_T0_S8_S8_T1_T2_lS8_S8_lT3_lS8_S8_lS9_T4_lS8_S8_l.has_indirect_call, 0
	.section	.AMDGPU.csdata,"",@progbits
; Kernel info:
; codeLenInByte = 4
; TotalNumSgprs: 0
; NumVgprs: 0
; ScratchSize: 0
; MemoryBound: 0
; FloatMode: 240
; IeeeMode: 1
; LDSByteSize: 0 bytes/workgroup (compile time only)
; SGPRBlocks: 0
; VGPRBlocks: 0
; NumSGPRsForWavesPerEU: 1
; NumVGPRsForWavesPerEU: 1
; NamedBarCnt: 0
; Occupancy: 16
; WaveLimiterHint : 0
; COMPUTE_PGM_RSRC2:SCRATCH_EN: 0
; COMPUTE_PGM_RSRC2:USER_SGPR: 2
; COMPUTE_PGM_RSRC2:TRAP_HANDLER: 0
; COMPUTE_PGM_RSRC2:TGID_X_EN: 1
; COMPUTE_PGM_RSRC2:TGID_Y_EN: 0
; COMPUTE_PGM_RSRC2:TGID_Z_EN: 0
; COMPUTE_PGM_RSRC2:TIDIG_COMP_CNT: 0
	.section	.text._ZN9rocsolver6v33100L11gemm_kernelI19rocblas_complex_numIfElPKS3_PKPS3_S6_S6_EEvT0_S9_S9_T1_bT2_lS9_S9_lbT3_lS9_S9_lSA_T4_lS9_S9_l,"axG",@progbits,_ZN9rocsolver6v33100L11gemm_kernelI19rocblas_complex_numIfElPKS3_PKPS3_S6_S6_EEvT0_S9_S9_T1_bT2_lS9_S9_lbT3_lS9_S9_lSA_T4_lS9_S9_l,comdat
	.globl	_ZN9rocsolver6v33100L11gemm_kernelI19rocblas_complex_numIfElPKS3_PKPS3_S6_S6_EEvT0_S9_S9_T1_bT2_lS9_S9_lbT3_lS9_S9_lSA_T4_lS9_S9_l ; -- Begin function _ZN9rocsolver6v33100L11gemm_kernelI19rocblas_complex_numIfElPKS3_PKPS3_S6_S6_EEvT0_S9_S9_T1_bT2_lS9_S9_lbT3_lS9_S9_lSA_T4_lS9_S9_l
	.p2align	8
	.type	_ZN9rocsolver6v33100L11gemm_kernelI19rocblas_complex_numIfElPKS3_PKPS3_S6_S6_EEvT0_S9_S9_T1_bT2_lS9_S9_lbT3_lS9_S9_lSA_T4_lS9_S9_l,@function
_ZN9rocsolver6v33100L11gemm_kernelI19rocblas_complex_numIfElPKS3_PKPS3_S6_S6_EEvT0_S9_S9_T1_bT2_lS9_S9_lbT3_lS9_S9_lSA_T4_lS9_S9_l: ; @_ZN9rocsolver6v33100L11gemm_kernelI19rocblas_complex_numIfElPKS3_PKPS3_S6_S6_EEvT0_S9_S9_T1_bT2_lS9_S9_lbT3_lS9_S9_lSA_T4_lS9_S9_l
; %bb.0:
	s_load_b32 s2, s[0:1], 0xbc
	s_bfe_u32 s4, ttmp6, 0x40010
	s_bfe_u32 s7, ttmp6, 0x4000c
	s_and_b32 s3, ttmp7, 0xffff
	s_add_co_i32 s4, s4, 1
	s_add_co_i32 s7, s7, 1
	s_bfe_u32 s5, ttmp6, 0x40004
	s_and_b32 s6, ttmp6, 15
	s_mul_i32 s4, s3, s4
	s_mul_i32 s7, ttmp9, s7
	s_getreg_b32 s24, hwreg(HW_REG_IB_STS2, 6, 4)
	v_mov_b32_e32 v5, 0
	v_and_b32_e32 v4, 0x3ff, v0
	s_add_co_i32 s5, s5, s4
	s_add_co_i32 s6, s6, s7
	s_load_b256 s[16:23], s[0:1], 0x0
	s_wait_kmcnt 0x0
	s_lshr_b32 s4, s2, 16
	s_and_b32 s2, s2, 0xffff
	s_cmp_eq_u32 s24, 0
	s_cselect_b32 s6, ttmp9, s6
	s_delay_alu instid0(SALU_CYCLE_1) | instskip(SKIP_3) | instid1(VALU_DEP_1)
	v_mad_nc_u64_u32 v[2:3], s2, s6, v[4:5]
	v_bfe_u32 v4, v0, 10, 10
	s_cselect_b32 s2, s3, s5
	s_mov_b32 s3, 0
	v_mad_nc_u64_u32 v[0:1], s4, s2, v[4:5]
	s_delay_alu instid0(VALU_DEP_3) | instskip(NEXT) | instid1(VALU_DEP_2)
	v_cmp_gt_i64_e32 vcc_lo, s[16:17], v[2:3]
	v_cmp_gt_i64_e64 s2, s[18:19], v[0:1]
	s_and_b32 s2, vcc_lo, s2
	s_delay_alu instid0(SALU_CYCLE_1)
	s_and_saveexec_b32 s4, s2
	s_cbranch_execz .LBB56_9
; %bb.1:
	s_load_b512 s[4:19], s[0:1], 0x58
	s_load_b64 s[34:35], s[22:23], 0x0
	s_bfe_u32 s2, ttmp6, 0x40014
	s_bfe_u32 s25, ttmp6, 0x40008
	s_add_co_i32 s2, s2, 1
	v_mov_b32_e32 v4, 0
	s_wait_kmcnt 0x0
	s_load_b64 s[22:23], s[14:15], 0x0
	s_wait_xcnt 0x0
	s_lshr_b32 s14, ttmp7, 16
	v_cmp_lt_i64_e64 s15, s[20:21], 1
	s_mul_i32 s2, s14, s2
	s_delay_alu instid0(SALU_CYCLE_1)
	s_add_co_i32 s25, s25, s2
	s_cmp_eq_u32 s24, 0
	s_cselect_b32 s2, s14, s25
	s_and_b32 vcc_lo, exec_lo, s15
	s_cbranch_vccnz .LBB56_8
; %bb.2:
	s_clause 0x1
	s_load_b256 s[24:31], s[0:1], 0x28
	s_load_b32 s33, s[0:1], 0x20
	v_mul_u64_e32 v[6:7], s[10:11], v[0:1]
	s_mul_u64 s[12:13], s[12:13], s[2:3]
	s_load_b32 s11, s[0:1], 0x50
	s_wait_kmcnt 0x0
	s_load_b64 s[14:15], s[24:25], s2 offset:0x0 scale_offset
	v_mul_u64_e32 v[4:5], s[28:29], v[2:3]
	s_bitcmp1_b32 s33, 0
	s_cselect_b32 s10, -1, 0
	s_delay_alu instid0(SALU_CYCLE_1)
	s_xor_b32 s10, s10, -1
	s_bitcmp1_b32 s11, 0
	s_cselect_b32 s11, -1, 0
	s_lshl_b64 s[6:7], s[6:7], 3
	s_wait_xcnt 0x0
	s_lshl_b64 s[24:25], s[26:27], 3
	s_lshl_b64 s[12:13], s[12:13], 3
	s_add_nc_u64 s[4:5], s[4:5], s[6:7]
	s_wait_kmcnt 0x0
	s_add_nc_u64 s[6:7], s[14:15], s[24:25]
	s_add_nc_u64 s[4:5], s[4:5], s[12:13]
	s_delay_alu instid0(VALU_DEP_2) | instid1(SALU_CYCLE_1)
	v_lshl_add_u64 v[8:9], v[6:7], 3, s[4:5]
	s_lshl_b64 s[4:5], s[30:31], 3
	s_delay_alu instid0(VALU_DEP_2) | instskip(NEXT) | instid1(VALU_DEP_2)
	v_lshl_add_u64 v[4:5], v[4:5], 3, s[6:7]
	v_add_nc_u64_e32 v[8:9], 4, v[8:9]
	s_lshl_b64 s[6:7], s[8:9], 3
	s_delay_alu instid0(VALU_DEP_2)
	v_add_nc_u64_e32 v[6:7], 4, v[4:5]
	v_dual_mov_b32 v5, 0 :: v_dual_mov_b32 v4, 0
	s_branch .LBB56_4
.LBB56_3:                               ;   in Loop: Header=BB56_4 Depth=1
	global_load_b64 v[12:13], v[8:9], off offset:-4
	s_wait_xcnt 0x1
	v_add_nc_u64_e32 v[6:7], s[4:5], v[6:7]
	s_wait_xcnt 0x0
	v_add_nc_u64_e32 v[8:9], s[6:7], v[8:9]
	s_add_nc_u64 s[20:21], s[20:21], -1
	s_delay_alu instid0(SALU_CYCLE_1) | instskip(SKIP_2) | instid1(VALU_DEP_1)
	s_cmp_eq_u64 s[20:21], 0
	s_wait_loadcnt_dscnt 0x0
	v_dual_cndmask_b32 v13, v13, -v13, s11 :: v_dual_mul_f32 v14, v11, v12
	v_dual_mul_f32 v11, v11, v13 :: v_dual_fmac_f32 v14, v13, v10
	s_delay_alu instid0(VALU_DEP_1) | instskip(NEXT) | instid1(VALU_DEP_2)
	v_fma_f32 v10, v12, v10, -v11
	v_add_f32_e32 v5, v5, v14
	s_delay_alu instid0(VALU_DEP_2)
	v_add_f32_e32 v4, v4, v10
	s_cbranch_scc1 .LBB56_8
.LBB56_4:                               ; =>This Inner Loop Header: Depth=1
	s_and_b32 vcc_lo, exec_lo, s10
	s_mov_b32 s8, -1
                                        ; implicit-def: $vgpr11
	s_cbranch_vccz .LBB56_6
; %bb.5:                                ;   in Loop: Header=BB56_4 Depth=1
	flat_load_b64 v[10:11], v[6:7] offset:-4
	s_mov_b32 s8, 0
.LBB56_6:                               ;   in Loop: Header=BB56_4 Depth=1
	s_delay_alu instid0(SALU_CYCLE_1)
	s_and_not1_b32 vcc_lo, exec_lo, s8
	s_cbranch_vccnz .LBB56_3
; %bb.7:                                ;   in Loop: Header=BB56_4 Depth=1
	s_wait_loadcnt_dscnt 0x0
	flat_load_b64 v[10:11], v[6:7] offset:-4
	s_wait_loadcnt_dscnt 0x0
	v_xor_b32_e32 v11, 0x80000000, v11
	s_branch .LBB56_3
.LBB56_8:
	s_clause 0x1
	s_load_b128 s[4:7], s[0:1], 0x98
	s_load_b64 s[8:9], s[0:1], 0xa8
	v_mov_b64_e32 v[8:9], s[34:35]
	s_wait_kmcnt 0x0
	v_mov_b64_e32 v[10:11], s[22:23]
	v_mov_b32_e32 v6, v5
	s_delay_alu instid0(VALU_DEP_1) | instskip(NEXT) | instid1(VALU_DEP_1)
	v_pk_mul_f32 v[6:7], v[8:9], v[6:7] op_sel:[1,0] op_sel_hi:[0,0]
	v_pk_fma_f32 v[14:15], v[8:9], v[4:5], v[6:7] op_sel_hi:[1,0,1]
	v_pk_fma_f32 v[4:5], v[8:9], v[4:5], v[6:7] neg_lo:[0,0,1] neg_hi:[0,0,1]
	s_delay_alu instid0(VALU_DEP_2)
	v_mov_b32_e32 v5, v15
	v_mul_u64_e32 v[2:3], s[4:5], v[2:3]
	v_mul_u64_e32 v[0:1], s[6:7], v[0:1]
	s_mul_u64 s[0:1], s[8:9], s[2:3]
	s_lshl_b64 s[2:3], s[18:19], 3
	s_lshl_b64 s[0:1], s[0:1], 3
	s_delay_alu instid0(SALU_CYCLE_1) | instskip(NEXT) | instid1(SALU_CYCLE_1)
	s_add_nc_u64 s[0:1], s[16:17], s[0:1]
	s_add_nc_u64 s[0:1], s[0:1], s[2:3]
	s_delay_alu instid0(VALU_DEP_2) | instid1(SALU_CYCLE_1)
	v_lshl_add_u64 v[2:3], v[2:3], 3, s[0:1]
	s_delay_alu instid0(VALU_DEP_1) | instskip(SKIP_3) | instid1(VALU_DEP_1)
	v_lshl_add_u64 v[0:1], v[0:1], 3, v[2:3]
	global_load_b64 v[2:3], v[0:1], off
	s_wait_loadcnt 0x0
	v_pk_mul_f32 v[12:13], v[10:11], v[2:3] op_sel:[1,1] op_sel_hi:[0,1]
	v_pk_fma_f32 v[16:17], v[10:11], v[2:3], v[12:13] op_sel_hi:[1,0,1]
	v_pk_fma_f32 v[2:3], v[10:11], v[2:3], v[12:13] neg_lo:[0,0,1] neg_hi:[0,0,1]
	s_delay_alu instid0(VALU_DEP_2) | instskip(NEXT) | instid1(VALU_DEP_1)
	v_mov_b32_e32 v3, v17
	v_pk_add_f32 v[2:3], v[4:5], v[2:3]
	global_store_b64 v[0:1], v[2:3], off
.LBB56_9:
	s_endpgm
	.section	.rodata,"a",@progbits
	.p2align	6, 0x0
	.amdhsa_kernel _ZN9rocsolver6v33100L11gemm_kernelI19rocblas_complex_numIfElPKS3_PKPS3_S6_S6_EEvT0_S9_S9_T1_bT2_lS9_S9_lbT3_lS9_S9_lSA_T4_lS9_S9_l
		.amdhsa_group_segment_fixed_size 0
		.amdhsa_private_segment_fixed_size 0
		.amdhsa_kernarg_size 432
		.amdhsa_user_sgpr_count 2
		.amdhsa_user_sgpr_dispatch_ptr 0
		.amdhsa_user_sgpr_queue_ptr 0
		.amdhsa_user_sgpr_kernarg_segment_ptr 1
		.amdhsa_user_sgpr_dispatch_id 0
		.amdhsa_user_sgpr_kernarg_preload_length 0
		.amdhsa_user_sgpr_kernarg_preload_offset 0
		.amdhsa_user_sgpr_private_segment_size 0
		.amdhsa_wavefront_size32 1
		.amdhsa_uses_dynamic_stack 0
		.amdhsa_enable_private_segment 0
		.amdhsa_system_sgpr_workgroup_id_x 1
		.amdhsa_system_sgpr_workgroup_id_y 1
		.amdhsa_system_sgpr_workgroup_id_z 1
		.amdhsa_system_sgpr_workgroup_info 0
		.amdhsa_system_vgpr_workitem_id 1
		.amdhsa_next_free_vgpr 18
		.amdhsa_next_free_sgpr 36
		.amdhsa_named_barrier_count 0
		.amdhsa_reserve_vcc 1
		.amdhsa_float_round_mode_32 0
		.amdhsa_float_round_mode_16_64 0
		.amdhsa_float_denorm_mode_32 3
		.amdhsa_float_denorm_mode_16_64 3
		.amdhsa_fp16_overflow 0
		.amdhsa_memory_ordered 1
		.amdhsa_forward_progress 1
		.amdhsa_inst_pref_size 7
		.amdhsa_round_robin_scheduling 0
		.amdhsa_exception_fp_ieee_invalid_op 0
		.amdhsa_exception_fp_denorm_src 0
		.amdhsa_exception_fp_ieee_div_zero 0
		.amdhsa_exception_fp_ieee_overflow 0
		.amdhsa_exception_fp_ieee_underflow 0
		.amdhsa_exception_fp_ieee_inexact 0
		.amdhsa_exception_int_div_zero 0
	.end_amdhsa_kernel
	.section	.text._ZN9rocsolver6v33100L11gemm_kernelI19rocblas_complex_numIfElPKS3_PKPS3_S6_S6_EEvT0_S9_S9_T1_bT2_lS9_S9_lbT3_lS9_S9_lSA_T4_lS9_S9_l,"axG",@progbits,_ZN9rocsolver6v33100L11gemm_kernelI19rocblas_complex_numIfElPKS3_PKPS3_S6_S6_EEvT0_S9_S9_T1_bT2_lS9_S9_lbT3_lS9_S9_lSA_T4_lS9_S9_l,comdat
.Lfunc_end56:
	.size	_ZN9rocsolver6v33100L11gemm_kernelI19rocblas_complex_numIfElPKS3_PKPS3_S6_S6_EEvT0_S9_S9_T1_bT2_lS9_S9_lbT3_lS9_S9_lSA_T4_lS9_S9_l, .Lfunc_end56-_ZN9rocsolver6v33100L11gemm_kernelI19rocblas_complex_numIfElPKS3_PKPS3_S6_S6_EEvT0_S9_S9_T1_bT2_lS9_S9_lbT3_lS9_S9_lSA_T4_lS9_S9_l
                                        ; -- End function
	.set _ZN9rocsolver6v33100L11gemm_kernelI19rocblas_complex_numIfElPKS3_PKPS3_S6_S6_EEvT0_S9_S9_T1_bT2_lS9_S9_lbT3_lS9_S9_lSA_T4_lS9_S9_l.num_vgpr, 18
	.set _ZN9rocsolver6v33100L11gemm_kernelI19rocblas_complex_numIfElPKS3_PKPS3_S6_S6_EEvT0_S9_S9_T1_bT2_lS9_S9_lbT3_lS9_S9_lSA_T4_lS9_S9_l.num_agpr, 0
	.set _ZN9rocsolver6v33100L11gemm_kernelI19rocblas_complex_numIfElPKS3_PKPS3_S6_S6_EEvT0_S9_S9_T1_bT2_lS9_S9_lbT3_lS9_S9_lSA_T4_lS9_S9_l.numbered_sgpr, 36
	.set _ZN9rocsolver6v33100L11gemm_kernelI19rocblas_complex_numIfElPKS3_PKPS3_S6_S6_EEvT0_S9_S9_T1_bT2_lS9_S9_lbT3_lS9_S9_lSA_T4_lS9_S9_l.num_named_barrier, 0
	.set _ZN9rocsolver6v33100L11gemm_kernelI19rocblas_complex_numIfElPKS3_PKPS3_S6_S6_EEvT0_S9_S9_T1_bT2_lS9_S9_lbT3_lS9_S9_lSA_T4_lS9_S9_l.private_seg_size, 0
	.set _ZN9rocsolver6v33100L11gemm_kernelI19rocblas_complex_numIfElPKS3_PKPS3_S6_S6_EEvT0_S9_S9_T1_bT2_lS9_S9_lbT3_lS9_S9_lSA_T4_lS9_S9_l.uses_vcc, 1
	.set _ZN9rocsolver6v33100L11gemm_kernelI19rocblas_complex_numIfElPKS3_PKPS3_S6_S6_EEvT0_S9_S9_T1_bT2_lS9_S9_lbT3_lS9_S9_lSA_T4_lS9_S9_l.uses_flat_scratch, 0
	.set _ZN9rocsolver6v33100L11gemm_kernelI19rocblas_complex_numIfElPKS3_PKPS3_S6_S6_EEvT0_S9_S9_T1_bT2_lS9_S9_lbT3_lS9_S9_lSA_T4_lS9_S9_l.has_dyn_sized_stack, 0
	.set _ZN9rocsolver6v33100L11gemm_kernelI19rocblas_complex_numIfElPKS3_PKPS3_S6_S6_EEvT0_S9_S9_T1_bT2_lS9_S9_lbT3_lS9_S9_lSA_T4_lS9_S9_l.has_recursion, 0
	.set _ZN9rocsolver6v33100L11gemm_kernelI19rocblas_complex_numIfElPKS3_PKPS3_S6_S6_EEvT0_S9_S9_T1_bT2_lS9_S9_lbT3_lS9_S9_lSA_T4_lS9_S9_l.has_indirect_call, 0
	.section	.AMDGPU.csdata,"",@progbits
; Kernel info:
; codeLenInByte = 808
; TotalNumSgprs: 38
; NumVgprs: 18
; ScratchSize: 0
; MemoryBound: 0
; FloatMode: 240
; IeeeMode: 1
; LDSByteSize: 0 bytes/workgroup (compile time only)
; SGPRBlocks: 0
; VGPRBlocks: 1
; NumSGPRsForWavesPerEU: 38
; NumVGPRsForWavesPerEU: 18
; NamedBarCnt: 0
; Occupancy: 16
; WaveLimiterHint : 0
; COMPUTE_PGM_RSRC2:SCRATCH_EN: 0
; COMPUTE_PGM_RSRC2:USER_SGPR: 2
; COMPUTE_PGM_RSRC2:TRAP_HANDLER: 0
; COMPUTE_PGM_RSRC2:TGID_X_EN: 1
; COMPUTE_PGM_RSRC2:TGID_Y_EN: 1
; COMPUTE_PGM_RSRC2:TGID_Z_EN: 1
; COMPUTE_PGM_RSRC2:TIDIG_COMP_CNT: 1
	.section	.text._ZN9rocsolver6v33100L11gemm_kernelI19rocblas_complex_numIfElS3_PKPS3_S4_S4_EEvT0_S7_S7_T1_bT2_lS7_S7_lbT3_lS7_S7_lS8_T4_lS7_S7_l,"axG",@progbits,_ZN9rocsolver6v33100L11gemm_kernelI19rocblas_complex_numIfElS3_PKPS3_S4_S4_EEvT0_S7_S7_T1_bT2_lS7_S7_lbT3_lS7_S7_lS8_T4_lS7_S7_l,comdat
	.globl	_ZN9rocsolver6v33100L11gemm_kernelI19rocblas_complex_numIfElS3_PKPS3_S4_S4_EEvT0_S7_S7_T1_bT2_lS7_S7_lbT3_lS7_S7_lS8_T4_lS7_S7_l ; -- Begin function _ZN9rocsolver6v33100L11gemm_kernelI19rocblas_complex_numIfElS3_PKPS3_S4_S4_EEvT0_S7_S7_T1_bT2_lS7_S7_lbT3_lS7_S7_lS8_T4_lS7_S7_l
	.p2align	8
	.type	_ZN9rocsolver6v33100L11gemm_kernelI19rocblas_complex_numIfElS3_PKPS3_S4_S4_EEvT0_S7_S7_T1_bT2_lS7_S7_lbT3_lS7_S7_lS8_T4_lS7_S7_l,@function
_ZN9rocsolver6v33100L11gemm_kernelI19rocblas_complex_numIfElS3_PKPS3_S4_S4_EEvT0_S7_S7_T1_bT2_lS7_S7_lbT3_lS7_S7_lS8_T4_lS7_S7_l: ; @_ZN9rocsolver6v33100L11gemm_kernelI19rocblas_complex_numIfElS3_PKPS3_S4_S4_EEvT0_S7_S7_T1_bT2_lS7_S7_lbT3_lS7_S7_lS8_T4_lS7_S7_l
; %bb.0:
	s_clause 0x1
	s_load_b32 s2, s[0:1], 0xbc
	s_load_b128 s[8:11], s[0:1], 0x0
	s_bfe_u32 s5, ttmp6, 0x40010
	s_bfe_u32 s12, ttmp6, 0x4000c
	s_and_b32 s3, ttmp7, 0xffff
	s_add_co_i32 s5, s5, 1
	s_add_co_i32 s12, s12, 1
	s_bfe_u32 s6, ttmp6, 0x40004
	s_and_b32 s7, ttmp6, 15
	s_mul_i32 s5, s3, s5
	s_mul_i32 s12, ttmp9, s12
	s_getreg_b32 s4, hwreg(HW_REG_IB_STS2, 6, 4)
	v_mov_b32_e32 v5, 0
	v_and_b32_e32 v4, 0x3ff, v0
	s_add_co_i32 s6, s6, s5
	s_add_co_i32 s7, s7, s12
	s_mov_b32 s25, 0
	s_wait_kmcnt 0x0
	s_lshr_b32 s5, s2, 16
	s_and_b32 s2, s2, 0xffff
	s_cmp_eq_u32 s4, 0
	s_cselect_b32 s7, ttmp9, s7
	s_delay_alu instid0(SALU_CYCLE_1)
	v_mad_nc_u64_u32 v[2:3], s2, s7, v[4:5]
	v_bfe_u32 v4, v0, 10, 10
	s_cselect_b32 s2, s3, s6
	s_delay_alu instid0(VALU_DEP_1) | instid1(SALU_CYCLE_1)
	v_mad_nc_u64_u32 v[0:1], s5, s2, v[4:5]
	s_delay_alu instid0(VALU_DEP_3) | instskip(NEXT) | instid1(VALU_DEP_2)
	v_cmp_gt_i64_e32 vcc_lo, s[8:9], v[2:3]
	v_cmp_gt_i64_e64 s2, s[10:11], v[0:1]
	s_and_b32 s2, vcc_lo, s2
	s_delay_alu instid0(SALU_CYCLE_1)
	s_and_saveexec_b32 s3, s2
	s_cbranch_execz .LBB57_9
; %bb.1:
	s_clause 0x2
	s_load_b64 s[26:27], s[0:1], 0x10
	s_load_b96 s[20:22], s[0:1], 0x18
	s_load_b64 s[2:3], s[0:1], 0x80
	s_bfe_u32 s6, ttmp6, 0x40014
	s_lshr_b32 s5, ttmp7, 16
	s_add_co_i32 s6, s6, 1
	s_bfe_u32 s7, ttmp6, 0x40008
	s_mul_i32 s6, s5, s6
	v_mov_b32_e32 v4, 0
	s_add_co_i32 s7, s7, s6
	s_cmp_eq_u32 s4, 0
	s_cselect_b32 s24, s5, s7
	s_wait_kmcnt 0x0
	v_cmp_lt_i64_e64 s8, s[26:27], 1
	s_and_b32 vcc_lo, exec_lo, s8
	s_cbranch_vccnz .LBB57_8
; %bb.2:
	s_clause 0x1
	s_load_b256 s[4:11], s[0:1], 0x28
	s_load_b256 s[12:19], s[0:1], 0x58
	s_bitcmp1_b32 s22, 0
	s_wait_kmcnt 0x0
	v_mul_u64_e32 v[4:5], s[8:9], v[2:3]
	v_mul_u64_e32 v[6:7], s[18:19], v[0:1]
	s_clause 0x1
	s_load_b32 s9, s[0:1], 0x50
	s_load_b64 s[18:19], s[0:1], 0x78
	s_load_b64 s[28:29], s[4:5], s24 offset:0x0 scale_offset
	s_wait_xcnt 0x0
	s_cselect_b32 s4, -1, 0
	s_delay_alu instid0(SALU_CYCLE_1)
	s_xor_b32 s8, s4, -1
	s_wait_kmcnt 0x0
	s_bitcmp1_b32 s9, 0
	s_mul_u64 s[4:5], s[18:19], s[24:25]
	s_cselect_b32 s9, -1, 0
	s_lshl_b64 s[14:15], s[14:15], 3
	s_lshl_b64 s[6:7], s[6:7], 3
	;; [unrolled: 1-line block ×3, first 2 shown]
	s_add_nc_u64 s[12:13], s[12:13], s[14:15]
	s_add_nc_u64 s[6:7], s[28:29], s[6:7]
	;; [unrolled: 1-line block ×3, first 2 shown]
	s_delay_alu instid0(VALU_DEP_2) | instskip(NEXT) | instid1(VALU_DEP_2)
	v_lshl_add_u64 v[4:5], v[4:5], 3, s[6:7]
	v_lshl_add_u64 v[8:9], v[6:7], 3, s[4:5]
	s_lshl_b64 s[4:5], s[10:11], 3
	s_lshl_b64 s[6:7], s[16:17], 3
	s_delay_alu instid0(VALU_DEP_2) | instskip(NEXT) | instid1(VALU_DEP_2)
	v_add_nc_u64_e32 v[6:7], 4, v[4:5]
	v_add_nc_u64_e32 v[8:9], 4, v[8:9]
	v_dual_mov_b32 v5, 0 :: v_dual_mov_b32 v4, 0
	s_branch .LBB57_4
.LBB57_3:                               ;   in Loop: Header=BB57_4 Depth=1
	global_load_b64 v[12:13], v[8:9], off offset:-4
	s_wait_xcnt 0x1
	v_add_nc_u64_e32 v[6:7], s[4:5], v[6:7]
	s_wait_xcnt 0x0
	v_add_nc_u64_e32 v[8:9], s[6:7], v[8:9]
	s_add_nc_u64 s[26:27], s[26:27], -1
	s_delay_alu instid0(SALU_CYCLE_1) | instskip(SKIP_2) | instid1(VALU_DEP_1)
	s_cmp_eq_u64 s[26:27], 0
	s_wait_loadcnt_dscnt 0x0
	v_dual_cndmask_b32 v13, v13, -v13, s9 :: v_dual_mul_f32 v14, v11, v12
	v_dual_mul_f32 v11, v11, v13 :: v_dual_fmac_f32 v14, v13, v10
	s_delay_alu instid0(VALU_DEP_1) | instskip(NEXT) | instid1(VALU_DEP_2)
	v_fma_f32 v10, v12, v10, -v11
	v_add_f32_e32 v5, v5, v14
	s_delay_alu instid0(VALU_DEP_2)
	v_add_f32_e32 v4, v4, v10
	s_cbranch_scc1 .LBB57_8
.LBB57_4:                               ; =>This Inner Loop Header: Depth=1
	s_and_b32 vcc_lo, exec_lo, s8
	s_mov_b32 s10, -1
                                        ; implicit-def: $vgpr11
	s_cbranch_vccz .LBB57_6
; %bb.5:                                ;   in Loop: Header=BB57_4 Depth=1
	flat_load_b64 v[10:11], v[6:7] offset:-4
	s_mov_b32 s10, 0
.LBB57_6:                               ;   in Loop: Header=BB57_4 Depth=1
	s_delay_alu instid0(SALU_CYCLE_1)
	s_and_not1_b32 vcc_lo, exec_lo, s10
	s_cbranch_vccnz .LBB57_3
; %bb.7:                                ;   in Loop: Header=BB57_4 Depth=1
	s_wait_loadcnt_dscnt 0x0
	flat_load_b64 v[10:11], v[6:7] offset:-4
	s_wait_loadcnt_dscnt 0x0
	v_xor_b32_e32 v11, 0x80000000, v11
	s_branch .LBB57_3
.LBB57_8:
	s_load_b256 s[4:11], s[0:1], 0x88
	v_mov_b64_e32 v[8:9], s[20:21]
	s_wait_xcnt 0x0
	s_load_b64 s[0:1], s[0:1], 0xa8
	v_mov_b64_e32 v[10:11], s[2:3]
	v_mov_b32_e32 v6, v5
	s_delay_alu instid0(VALU_DEP_1) | instskip(NEXT) | instid1(VALU_DEP_1)
	v_pk_mul_f32 v[6:7], v[8:9], v[6:7] op_sel:[1,0] op_sel_hi:[0,0]
	v_pk_fma_f32 v[14:15], v[8:9], v[4:5], v[6:7] op_sel_hi:[1,0,1]
	v_pk_fma_f32 v[4:5], v[8:9], v[4:5], v[6:7] neg_lo:[0,0,1] neg_hi:[0,0,1]
	s_delay_alu instid0(VALU_DEP_2) | instskip(SKIP_4) | instid1(SALU_CYCLE_1)
	v_mov_b32_e32 v5, v15
	s_wait_kmcnt 0x0
	v_mul_u64_e32 v[2:3], s[8:9], v[2:3]
	v_mul_u64_e32 v[0:1], s[10:11], v[0:1]
	s_mul_u64 s[0:1], s[0:1], s[24:25]
	s_lshl_b64 s[0:1], s[0:1], 3
	s_delay_alu instid0(SALU_CYCLE_1) | instskip(SKIP_1) | instid1(SALU_CYCLE_1)
	s_add_nc_u64 s[0:1], s[4:5], s[0:1]
	s_lshl_b64 s[4:5], s[6:7], 3
	s_add_nc_u64 s[0:1], s[0:1], s[4:5]
	s_delay_alu instid0(VALU_DEP_2) | instid1(SALU_CYCLE_1)
	v_lshl_add_u64 v[2:3], v[2:3], 3, s[0:1]
	s_delay_alu instid0(VALU_DEP_1) | instskip(SKIP_3) | instid1(VALU_DEP_1)
	v_lshl_add_u64 v[0:1], v[0:1], 3, v[2:3]
	global_load_b64 v[2:3], v[0:1], off
	s_wait_loadcnt 0x0
	v_pk_mul_f32 v[12:13], v[10:11], v[2:3] op_sel:[1,1] op_sel_hi:[0,1]
	v_pk_fma_f32 v[16:17], v[10:11], v[2:3], v[12:13] op_sel_hi:[1,0,1]
	v_pk_fma_f32 v[2:3], v[10:11], v[2:3], v[12:13] neg_lo:[0,0,1] neg_hi:[0,0,1]
	s_delay_alu instid0(VALU_DEP_2) | instskip(NEXT) | instid1(VALU_DEP_1)
	v_mov_b32_e32 v3, v17
	v_pk_add_f32 v[2:3], v[4:5], v[2:3]
	global_store_b64 v[0:1], v[2:3], off
.LBB57_9:
	s_endpgm
	.section	.rodata,"a",@progbits
	.p2align	6, 0x0
	.amdhsa_kernel _ZN9rocsolver6v33100L11gemm_kernelI19rocblas_complex_numIfElS3_PKPS3_S4_S4_EEvT0_S7_S7_T1_bT2_lS7_S7_lbT3_lS7_S7_lS8_T4_lS7_S7_l
		.amdhsa_group_segment_fixed_size 0
		.amdhsa_private_segment_fixed_size 0
		.amdhsa_kernarg_size 432
		.amdhsa_user_sgpr_count 2
		.amdhsa_user_sgpr_dispatch_ptr 0
		.amdhsa_user_sgpr_queue_ptr 0
		.amdhsa_user_sgpr_kernarg_segment_ptr 1
		.amdhsa_user_sgpr_dispatch_id 0
		.amdhsa_user_sgpr_kernarg_preload_length 0
		.amdhsa_user_sgpr_kernarg_preload_offset 0
		.amdhsa_user_sgpr_private_segment_size 0
		.amdhsa_wavefront_size32 1
		.amdhsa_uses_dynamic_stack 0
		.amdhsa_enable_private_segment 0
		.amdhsa_system_sgpr_workgroup_id_x 1
		.amdhsa_system_sgpr_workgroup_id_y 1
		.amdhsa_system_sgpr_workgroup_id_z 1
		.amdhsa_system_sgpr_workgroup_info 0
		.amdhsa_system_vgpr_workitem_id 1
		.amdhsa_next_free_vgpr 18
		.amdhsa_next_free_sgpr 30
		.amdhsa_named_barrier_count 0
		.amdhsa_reserve_vcc 1
		.amdhsa_float_round_mode_32 0
		.amdhsa_float_round_mode_16_64 0
		.amdhsa_float_denorm_mode_32 3
		.amdhsa_float_denorm_mode_16_64 3
		.amdhsa_fp16_overflow 0
		.amdhsa_memory_ordered 1
		.amdhsa_forward_progress 1
		.amdhsa_inst_pref_size 7
		.amdhsa_round_robin_scheduling 0
		.amdhsa_exception_fp_ieee_invalid_op 0
		.amdhsa_exception_fp_denorm_src 0
		.amdhsa_exception_fp_ieee_div_zero 0
		.amdhsa_exception_fp_ieee_overflow 0
		.amdhsa_exception_fp_ieee_underflow 0
		.amdhsa_exception_fp_ieee_inexact 0
		.amdhsa_exception_int_div_zero 0
	.end_amdhsa_kernel
	.section	.text._ZN9rocsolver6v33100L11gemm_kernelI19rocblas_complex_numIfElS3_PKPS3_S4_S4_EEvT0_S7_S7_T1_bT2_lS7_S7_lbT3_lS7_S7_lS8_T4_lS7_S7_l,"axG",@progbits,_ZN9rocsolver6v33100L11gemm_kernelI19rocblas_complex_numIfElS3_PKPS3_S4_S4_EEvT0_S7_S7_T1_bT2_lS7_S7_lbT3_lS7_S7_lS8_T4_lS7_S7_l,comdat
.Lfunc_end57:
	.size	_ZN9rocsolver6v33100L11gemm_kernelI19rocblas_complex_numIfElS3_PKPS3_S4_S4_EEvT0_S7_S7_T1_bT2_lS7_S7_lbT3_lS7_S7_lS8_T4_lS7_S7_l, .Lfunc_end57-_ZN9rocsolver6v33100L11gemm_kernelI19rocblas_complex_numIfElS3_PKPS3_S4_S4_EEvT0_S7_S7_T1_bT2_lS7_S7_lbT3_lS7_S7_lS8_T4_lS7_S7_l
                                        ; -- End function
	.set _ZN9rocsolver6v33100L11gemm_kernelI19rocblas_complex_numIfElS3_PKPS3_S4_S4_EEvT0_S7_S7_T1_bT2_lS7_S7_lbT3_lS7_S7_lS8_T4_lS7_S7_l.num_vgpr, 18
	.set _ZN9rocsolver6v33100L11gemm_kernelI19rocblas_complex_numIfElS3_PKPS3_S4_S4_EEvT0_S7_S7_T1_bT2_lS7_S7_lbT3_lS7_S7_lS8_T4_lS7_S7_l.num_agpr, 0
	.set _ZN9rocsolver6v33100L11gemm_kernelI19rocblas_complex_numIfElS3_PKPS3_S4_S4_EEvT0_S7_S7_T1_bT2_lS7_S7_lbT3_lS7_S7_lS8_T4_lS7_S7_l.numbered_sgpr, 30
	.set _ZN9rocsolver6v33100L11gemm_kernelI19rocblas_complex_numIfElS3_PKPS3_S4_S4_EEvT0_S7_S7_T1_bT2_lS7_S7_lbT3_lS7_S7_lS8_T4_lS7_S7_l.num_named_barrier, 0
	.set _ZN9rocsolver6v33100L11gemm_kernelI19rocblas_complex_numIfElS3_PKPS3_S4_S4_EEvT0_S7_S7_T1_bT2_lS7_S7_lbT3_lS7_S7_lS8_T4_lS7_S7_l.private_seg_size, 0
	.set _ZN9rocsolver6v33100L11gemm_kernelI19rocblas_complex_numIfElS3_PKPS3_S4_S4_EEvT0_S7_S7_T1_bT2_lS7_S7_lbT3_lS7_S7_lS8_T4_lS7_S7_l.uses_vcc, 1
	.set _ZN9rocsolver6v33100L11gemm_kernelI19rocblas_complex_numIfElS3_PKPS3_S4_S4_EEvT0_S7_S7_T1_bT2_lS7_S7_lbT3_lS7_S7_lS8_T4_lS7_S7_l.uses_flat_scratch, 0
	.set _ZN9rocsolver6v33100L11gemm_kernelI19rocblas_complex_numIfElS3_PKPS3_S4_S4_EEvT0_S7_S7_T1_bT2_lS7_S7_lbT3_lS7_S7_lS8_T4_lS7_S7_l.has_dyn_sized_stack, 0
	.set _ZN9rocsolver6v33100L11gemm_kernelI19rocblas_complex_numIfElS3_PKPS3_S4_S4_EEvT0_S7_S7_T1_bT2_lS7_S7_lbT3_lS7_S7_lS8_T4_lS7_S7_l.has_recursion, 0
	.set _ZN9rocsolver6v33100L11gemm_kernelI19rocblas_complex_numIfElS3_PKPS3_S4_S4_EEvT0_S7_S7_T1_bT2_lS7_S7_lbT3_lS7_S7_lS8_T4_lS7_S7_l.has_indirect_call, 0
	.section	.AMDGPU.csdata,"",@progbits
; Kernel info:
; codeLenInByte = 820
; TotalNumSgprs: 32
; NumVgprs: 18
; ScratchSize: 0
; MemoryBound: 0
; FloatMode: 240
; IeeeMode: 1
; LDSByteSize: 0 bytes/workgroup (compile time only)
; SGPRBlocks: 0
; VGPRBlocks: 1
; NumSGPRsForWavesPerEU: 32
; NumVGPRsForWavesPerEU: 18
; NamedBarCnt: 0
; Occupancy: 16
; WaveLimiterHint : 1
; COMPUTE_PGM_RSRC2:SCRATCH_EN: 0
; COMPUTE_PGM_RSRC2:USER_SGPR: 2
; COMPUTE_PGM_RSRC2:TRAP_HANDLER: 0
; COMPUTE_PGM_RSRC2:TGID_X_EN: 1
; COMPUTE_PGM_RSRC2:TGID_Y_EN: 1
; COMPUTE_PGM_RSRC2:TGID_Z_EN: 1
; COMPUTE_PGM_RSRC2:TIDIG_COMP_CNT: 1
	.section	.text._ZN9rocsolver6v33100L16mfma_gemm_kernelI19rocblas_complex_numIfElPKS3_PS3_PKS6_S6_EEv18rocblas_operation_S9_T0_SA_SA_T1_T2_lSA_SA_lT3_lSA_SA_lSB_T4_lSA_SA_l,"axG",@progbits,_ZN9rocsolver6v33100L16mfma_gemm_kernelI19rocblas_complex_numIfElPKS3_PS3_PKS6_S6_EEv18rocblas_operation_S9_T0_SA_SA_T1_T2_lSA_SA_lT3_lSA_SA_lSB_T4_lSA_SA_l,comdat
	.globl	_ZN9rocsolver6v33100L16mfma_gemm_kernelI19rocblas_complex_numIfElPKS3_PS3_PKS6_S6_EEv18rocblas_operation_S9_T0_SA_SA_T1_T2_lSA_SA_lT3_lSA_SA_lSB_T4_lSA_SA_l ; -- Begin function _ZN9rocsolver6v33100L16mfma_gemm_kernelI19rocblas_complex_numIfElPKS3_PS3_PKS6_S6_EEv18rocblas_operation_S9_T0_SA_SA_T1_T2_lSA_SA_lT3_lSA_SA_lSB_T4_lSA_SA_l
	.p2align	8
	.type	_ZN9rocsolver6v33100L16mfma_gemm_kernelI19rocblas_complex_numIfElPKS3_PS3_PKS6_S6_EEv18rocblas_operation_S9_T0_SA_SA_T1_T2_lSA_SA_lT3_lSA_SA_lSB_T4_lSA_SA_l,@function
_ZN9rocsolver6v33100L16mfma_gemm_kernelI19rocblas_complex_numIfElPKS3_PS3_PKS6_S6_EEv18rocblas_operation_S9_T0_SA_SA_T1_T2_lSA_SA_lT3_lSA_SA_lSB_T4_lSA_SA_l: ; @_ZN9rocsolver6v33100L16mfma_gemm_kernelI19rocblas_complex_numIfElPKS3_PS3_PKS6_S6_EEv18rocblas_operation_S9_T0_SA_SA_T1_T2_lSA_SA_lT3_lSA_SA_lSB_T4_lSA_SA_l
; %bb.0:
	s_endpgm
	.section	.rodata,"a",@progbits
	.p2align	6, 0x0
	.amdhsa_kernel _ZN9rocsolver6v33100L16mfma_gemm_kernelI19rocblas_complex_numIfElPKS3_PS3_PKS6_S6_EEv18rocblas_operation_S9_T0_SA_SA_T1_T2_lSA_SA_lT3_lSA_SA_lSB_T4_lSA_SA_l
		.amdhsa_group_segment_fixed_size 0
		.amdhsa_private_segment_fixed_size 0
		.amdhsa_kernarg_size 168
		.amdhsa_user_sgpr_count 2
		.amdhsa_user_sgpr_dispatch_ptr 0
		.amdhsa_user_sgpr_queue_ptr 0
		.amdhsa_user_sgpr_kernarg_segment_ptr 1
		.amdhsa_user_sgpr_dispatch_id 0
		.amdhsa_user_sgpr_kernarg_preload_length 0
		.amdhsa_user_sgpr_kernarg_preload_offset 0
		.amdhsa_user_sgpr_private_segment_size 0
		.amdhsa_wavefront_size32 1
		.amdhsa_uses_dynamic_stack 0
		.amdhsa_enable_private_segment 0
		.amdhsa_system_sgpr_workgroup_id_x 1
		.amdhsa_system_sgpr_workgroup_id_y 0
		.amdhsa_system_sgpr_workgroup_id_z 0
		.amdhsa_system_sgpr_workgroup_info 0
		.amdhsa_system_vgpr_workitem_id 0
		.amdhsa_next_free_vgpr 1
		.amdhsa_next_free_sgpr 1
		.amdhsa_named_barrier_count 0
		.amdhsa_reserve_vcc 0
		.amdhsa_float_round_mode_32 0
		.amdhsa_float_round_mode_16_64 0
		.amdhsa_float_denorm_mode_32 3
		.amdhsa_float_denorm_mode_16_64 3
		.amdhsa_fp16_overflow 0
		.amdhsa_memory_ordered 1
		.amdhsa_forward_progress 1
		.amdhsa_inst_pref_size 1
		.amdhsa_round_robin_scheduling 0
		.amdhsa_exception_fp_ieee_invalid_op 0
		.amdhsa_exception_fp_denorm_src 0
		.amdhsa_exception_fp_ieee_div_zero 0
		.amdhsa_exception_fp_ieee_overflow 0
		.amdhsa_exception_fp_ieee_underflow 0
		.amdhsa_exception_fp_ieee_inexact 0
		.amdhsa_exception_int_div_zero 0
	.end_amdhsa_kernel
	.section	.text._ZN9rocsolver6v33100L16mfma_gemm_kernelI19rocblas_complex_numIfElPKS3_PS3_PKS6_S6_EEv18rocblas_operation_S9_T0_SA_SA_T1_T2_lSA_SA_lT3_lSA_SA_lSB_T4_lSA_SA_l,"axG",@progbits,_ZN9rocsolver6v33100L16mfma_gemm_kernelI19rocblas_complex_numIfElPKS3_PS3_PKS6_S6_EEv18rocblas_operation_S9_T0_SA_SA_T1_T2_lSA_SA_lT3_lSA_SA_lSB_T4_lSA_SA_l,comdat
.Lfunc_end58:
	.size	_ZN9rocsolver6v33100L16mfma_gemm_kernelI19rocblas_complex_numIfElPKS3_PS3_PKS6_S6_EEv18rocblas_operation_S9_T0_SA_SA_T1_T2_lSA_SA_lT3_lSA_SA_lSB_T4_lSA_SA_l, .Lfunc_end58-_ZN9rocsolver6v33100L16mfma_gemm_kernelI19rocblas_complex_numIfElPKS3_PS3_PKS6_S6_EEv18rocblas_operation_S9_T0_SA_SA_T1_T2_lSA_SA_lT3_lSA_SA_lSB_T4_lSA_SA_l
                                        ; -- End function
	.set _ZN9rocsolver6v33100L16mfma_gemm_kernelI19rocblas_complex_numIfElPKS3_PS3_PKS6_S6_EEv18rocblas_operation_S9_T0_SA_SA_T1_T2_lSA_SA_lT3_lSA_SA_lSB_T4_lSA_SA_l.num_vgpr, 0
	.set _ZN9rocsolver6v33100L16mfma_gemm_kernelI19rocblas_complex_numIfElPKS3_PS3_PKS6_S6_EEv18rocblas_operation_S9_T0_SA_SA_T1_T2_lSA_SA_lT3_lSA_SA_lSB_T4_lSA_SA_l.num_agpr, 0
	.set _ZN9rocsolver6v33100L16mfma_gemm_kernelI19rocblas_complex_numIfElPKS3_PS3_PKS6_S6_EEv18rocblas_operation_S9_T0_SA_SA_T1_T2_lSA_SA_lT3_lSA_SA_lSB_T4_lSA_SA_l.numbered_sgpr, 0
	.set _ZN9rocsolver6v33100L16mfma_gemm_kernelI19rocblas_complex_numIfElPKS3_PS3_PKS6_S6_EEv18rocblas_operation_S9_T0_SA_SA_T1_T2_lSA_SA_lT3_lSA_SA_lSB_T4_lSA_SA_l.num_named_barrier, 0
	.set _ZN9rocsolver6v33100L16mfma_gemm_kernelI19rocblas_complex_numIfElPKS3_PS3_PKS6_S6_EEv18rocblas_operation_S9_T0_SA_SA_T1_T2_lSA_SA_lT3_lSA_SA_lSB_T4_lSA_SA_l.private_seg_size, 0
	.set _ZN9rocsolver6v33100L16mfma_gemm_kernelI19rocblas_complex_numIfElPKS3_PS3_PKS6_S6_EEv18rocblas_operation_S9_T0_SA_SA_T1_T2_lSA_SA_lT3_lSA_SA_lSB_T4_lSA_SA_l.uses_vcc, 0
	.set _ZN9rocsolver6v33100L16mfma_gemm_kernelI19rocblas_complex_numIfElPKS3_PS3_PKS6_S6_EEv18rocblas_operation_S9_T0_SA_SA_T1_T2_lSA_SA_lT3_lSA_SA_lSB_T4_lSA_SA_l.uses_flat_scratch, 0
	.set _ZN9rocsolver6v33100L16mfma_gemm_kernelI19rocblas_complex_numIfElPKS3_PS3_PKS6_S6_EEv18rocblas_operation_S9_T0_SA_SA_T1_T2_lSA_SA_lT3_lSA_SA_lSB_T4_lSA_SA_l.has_dyn_sized_stack, 0
	.set _ZN9rocsolver6v33100L16mfma_gemm_kernelI19rocblas_complex_numIfElPKS3_PS3_PKS6_S6_EEv18rocblas_operation_S9_T0_SA_SA_T1_T2_lSA_SA_lT3_lSA_SA_lSB_T4_lSA_SA_l.has_recursion, 0
	.set _ZN9rocsolver6v33100L16mfma_gemm_kernelI19rocblas_complex_numIfElPKS3_PS3_PKS6_S6_EEv18rocblas_operation_S9_T0_SA_SA_T1_T2_lSA_SA_lT3_lSA_SA_lSB_T4_lSA_SA_l.has_indirect_call, 0
	.section	.AMDGPU.csdata,"",@progbits
; Kernel info:
; codeLenInByte = 4
; TotalNumSgprs: 0
; NumVgprs: 0
; ScratchSize: 0
; MemoryBound: 0
; FloatMode: 240
; IeeeMode: 1
; LDSByteSize: 0 bytes/workgroup (compile time only)
; SGPRBlocks: 0
; VGPRBlocks: 0
; NumSGPRsForWavesPerEU: 1
; NumVGPRsForWavesPerEU: 1
; NamedBarCnt: 0
; Occupancy: 16
; WaveLimiterHint : 0
; COMPUTE_PGM_RSRC2:SCRATCH_EN: 0
; COMPUTE_PGM_RSRC2:USER_SGPR: 2
; COMPUTE_PGM_RSRC2:TRAP_HANDLER: 0
; COMPUTE_PGM_RSRC2:TGID_X_EN: 1
; COMPUTE_PGM_RSRC2:TGID_Y_EN: 0
; COMPUTE_PGM_RSRC2:TGID_Z_EN: 0
; COMPUTE_PGM_RSRC2:TIDIG_COMP_CNT: 0
	.section	.text._ZN9rocsolver6v33100L16mfma_gemm_kernelI19rocblas_complex_numIfElS3_PS3_PKS4_S4_EEv18rocblas_operation_S7_T0_S8_S8_T1_T2_lS8_S8_lT3_lS8_S8_lS9_T4_lS8_S8_l,"axG",@progbits,_ZN9rocsolver6v33100L16mfma_gemm_kernelI19rocblas_complex_numIfElS3_PS3_PKS4_S4_EEv18rocblas_operation_S7_T0_S8_S8_T1_T2_lS8_S8_lT3_lS8_S8_lS9_T4_lS8_S8_l,comdat
	.globl	_ZN9rocsolver6v33100L16mfma_gemm_kernelI19rocblas_complex_numIfElS3_PS3_PKS4_S4_EEv18rocblas_operation_S7_T0_S8_S8_T1_T2_lS8_S8_lT3_lS8_S8_lS9_T4_lS8_S8_l ; -- Begin function _ZN9rocsolver6v33100L16mfma_gemm_kernelI19rocblas_complex_numIfElS3_PS3_PKS4_S4_EEv18rocblas_operation_S7_T0_S8_S8_T1_T2_lS8_S8_lT3_lS8_S8_lS9_T4_lS8_S8_l
	.p2align	8
	.type	_ZN9rocsolver6v33100L16mfma_gemm_kernelI19rocblas_complex_numIfElS3_PS3_PKS4_S4_EEv18rocblas_operation_S7_T0_S8_S8_T1_T2_lS8_S8_lT3_lS8_S8_lS9_T4_lS8_S8_l,@function
_ZN9rocsolver6v33100L16mfma_gemm_kernelI19rocblas_complex_numIfElS3_PS3_PKS4_S4_EEv18rocblas_operation_S7_T0_S8_S8_T1_T2_lS8_S8_lT3_lS8_S8_lS9_T4_lS8_S8_l: ; @_ZN9rocsolver6v33100L16mfma_gemm_kernelI19rocblas_complex_numIfElS3_PS3_PKS4_S4_EEv18rocblas_operation_S7_T0_S8_S8_T1_T2_lS8_S8_lT3_lS8_S8_lS9_T4_lS8_S8_l
; %bb.0:
	s_endpgm
	.section	.rodata,"a",@progbits
	.p2align	6, 0x0
	.amdhsa_kernel _ZN9rocsolver6v33100L16mfma_gemm_kernelI19rocblas_complex_numIfElS3_PS3_PKS4_S4_EEv18rocblas_operation_S7_T0_S8_S8_T1_T2_lS8_S8_lT3_lS8_S8_lS9_T4_lS8_S8_l
		.amdhsa_group_segment_fixed_size 0
		.amdhsa_private_segment_fixed_size 0
		.amdhsa_kernarg_size 168
		.amdhsa_user_sgpr_count 2
		.amdhsa_user_sgpr_dispatch_ptr 0
		.amdhsa_user_sgpr_queue_ptr 0
		.amdhsa_user_sgpr_kernarg_segment_ptr 1
		.amdhsa_user_sgpr_dispatch_id 0
		.amdhsa_user_sgpr_kernarg_preload_length 0
		.amdhsa_user_sgpr_kernarg_preload_offset 0
		.amdhsa_user_sgpr_private_segment_size 0
		.amdhsa_wavefront_size32 1
		.amdhsa_uses_dynamic_stack 0
		.amdhsa_enable_private_segment 0
		.amdhsa_system_sgpr_workgroup_id_x 1
		.amdhsa_system_sgpr_workgroup_id_y 0
		.amdhsa_system_sgpr_workgroup_id_z 0
		.amdhsa_system_sgpr_workgroup_info 0
		.amdhsa_system_vgpr_workitem_id 0
		.amdhsa_next_free_vgpr 1
		.amdhsa_next_free_sgpr 1
		.amdhsa_named_barrier_count 0
		.amdhsa_reserve_vcc 0
		.amdhsa_float_round_mode_32 0
		.amdhsa_float_round_mode_16_64 0
		.amdhsa_float_denorm_mode_32 3
		.amdhsa_float_denorm_mode_16_64 3
		.amdhsa_fp16_overflow 0
		.amdhsa_memory_ordered 1
		.amdhsa_forward_progress 1
		.amdhsa_inst_pref_size 1
		.amdhsa_round_robin_scheduling 0
		.amdhsa_exception_fp_ieee_invalid_op 0
		.amdhsa_exception_fp_denorm_src 0
		.amdhsa_exception_fp_ieee_div_zero 0
		.amdhsa_exception_fp_ieee_overflow 0
		.amdhsa_exception_fp_ieee_underflow 0
		.amdhsa_exception_fp_ieee_inexact 0
		.amdhsa_exception_int_div_zero 0
	.end_amdhsa_kernel
	.section	.text._ZN9rocsolver6v33100L16mfma_gemm_kernelI19rocblas_complex_numIfElS3_PS3_PKS4_S4_EEv18rocblas_operation_S7_T0_S8_S8_T1_T2_lS8_S8_lT3_lS8_S8_lS9_T4_lS8_S8_l,"axG",@progbits,_ZN9rocsolver6v33100L16mfma_gemm_kernelI19rocblas_complex_numIfElS3_PS3_PKS4_S4_EEv18rocblas_operation_S7_T0_S8_S8_T1_T2_lS8_S8_lT3_lS8_S8_lS9_T4_lS8_S8_l,comdat
.Lfunc_end59:
	.size	_ZN9rocsolver6v33100L16mfma_gemm_kernelI19rocblas_complex_numIfElS3_PS3_PKS4_S4_EEv18rocblas_operation_S7_T0_S8_S8_T1_T2_lS8_S8_lT3_lS8_S8_lS9_T4_lS8_S8_l, .Lfunc_end59-_ZN9rocsolver6v33100L16mfma_gemm_kernelI19rocblas_complex_numIfElS3_PS3_PKS4_S4_EEv18rocblas_operation_S7_T0_S8_S8_T1_T2_lS8_S8_lT3_lS8_S8_lS9_T4_lS8_S8_l
                                        ; -- End function
	.set _ZN9rocsolver6v33100L16mfma_gemm_kernelI19rocblas_complex_numIfElS3_PS3_PKS4_S4_EEv18rocblas_operation_S7_T0_S8_S8_T1_T2_lS8_S8_lT3_lS8_S8_lS9_T4_lS8_S8_l.num_vgpr, 0
	.set _ZN9rocsolver6v33100L16mfma_gemm_kernelI19rocblas_complex_numIfElS3_PS3_PKS4_S4_EEv18rocblas_operation_S7_T0_S8_S8_T1_T2_lS8_S8_lT3_lS8_S8_lS9_T4_lS8_S8_l.num_agpr, 0
	.set _ZN9rocsolver6v33100L16mfma_gemm_kernelI19rocblas_complex_numIfElS3_PS3_PKS4_S4_EEv18rocblas_operation_S7_T0_S8_S8_T1_T2_lS8_S8_lT3_lS8_S8_lS9_T4_lS8_S8_l.numbered_sgpr, 0
	.set _ZN9rocsolver6v33100L16mfma_gemm_kernelI19rocblas_complex_numIfElS3_PS3_PKS4_S4_EEv18rocblas_operation_S7_T0_S8_S8_T1_T2_lS8_S8_lT3_lS8_S8_lS9_T4_lS8_S8_l.num_named_barrier, 0
	.set _ZN9rocsolver6v33100L16mfma_gemm_kernelI19rocblas_complex_numIfElS3_PS3_PKS4_S4_EEv18rocblas_operation_S7_T0_S8_S8_T1_T2_lS8_S8_lT3_lS8_S8_lS9_T4_lS8_S8_l.private_seg_size, 0
	.set _ZN9rocsolver6v33100L16mfma_gemm_kernelI19rocblas_complex_numIfElS3_PS3_PKS4_S4_EEv18rocblas_operation_S7_T0_S8_S8_T1_T2_lS8_S8_lT3_lS8_S8_lS9_T4_lS8_S8_l.uses_vcc, 0
	.set _ZN9rocsolver6v33100L16mfma_gemm_kernelI19rocblas_complex_numIfElS3_PS3_PKS4_S4_EEv18rocblas_operation_S7_T0_S8_S8_T1_T2_lS8_S8_lT3_lS8_S8_lS9_T4_lS8_S8_l.uses_flat_scratch, 0
	.set _ZN9rocsolver6v33100L16mfma_gemm_kernelI19rocblas_complex_numIfElS3_PS3_PKS4_S4_EEv18rocblas_operation_S7_T0_S8_S8_T1_T2_lS8_S8_lT3_lS8_S8_lS9_T4_lS8_S8_l.has_dyn_sized_stack, 0
	.set _ZN9rocsolver6v33100L16mfma_gemm_kernelI19rocblas_complex_numIfElS3_PS3_PKS4_S4_EEv18rocblas_operation_S7_T0_S8_S8_T1_T2_lS8_S8_lT3_lS8_S8_lS9_T4_lS8_S8_l.has_recursion, 0
	.set _ZN9rocsolver6v33100L16mfma_gemm_kernelI19rocblas_complex_numIfElS3_PS3_PKS4_S4_EEv18rocblas_operation_S7_T0_S8_S8_T1_T2_lS8_S8_lT3_lS8_S8_lS9_T4_lS8_S8_l.has_indirect_call, 0
	.section	.AMDGPU.csdata,"",@progbits
; Kernel info:
; codeLenInByte = 4
; TotalNumSgprs: 0
; NumVgprs: 0
; ScratchSize: 0
; MemoryBound: 0
; FloatMode: 240
; IeeeMode: 1
; LDSByteSize: 0 bytes/workgroup (compile time only)
; SGPRBlocks: 0
; VGPRBlocks: 0
; NumSGPRsForWavesPerEU: 1
; NumVGPRsForWavesPerEU: 1
; NamedBarCnt: 0
; Occupancy: 16
; WaveLimiterHint : 0
; COMPUTE_PGM_RSRC2:SCRATCH_EN: 0
; COMPUTE_PGM_RSRC2:USER_SGPR: 2
; COMPUTE_PGM_RSRC2:TRAP_HANDLER: 0
; COMPUTE_PGM_RSRC2:TGID_X_EN: 1
; COMPUTE_PGM_RSRC2:TGID_Y_EN: 0
; COMPUTE_PGM_RSRC2:TGID_Z_EN: 0
; COMPUTE_PGM_RSRC2:TIDIG_COMP_CNT: 0
	.section	.text._ZN9rocsolver6v33100L11gemm_kernelI19rocblas_complex_numIfElPKS3_PS3_PKS6_S6_EEvT0_S9_S9_T1_bT2_lS9_S9_lbT3_lS9_S9_lSA_T4_lS9_S9_l,"axG",@progbits,_ZN9rocsolver6v33100L11gemm_kernelI19rocblas_complex_numIfElPKS3_PS3_PKS6_S6_EEvT0_S9_S9_T1_bT2_lS9_S9_lbT3_lS9_S9_lSA_T4_lS9_S9_l,comdat
	.globl	_ZN9rocsolver6v33100L11gemm_kernelI19rocblas_complex_numIfElPKS3_PS3_PKS6_S6_EEvT0_S9_S9_T1_bT2_lS9_S9_lbT3_lS9_S9_lSA_T4_lS9_S9_l ; -- Begin function _ZN9rocsolver6v33100L11gemm_kernelI19rocblas_complex_numIfElPKS3_PS3_PKS6_S6_EEvT0_S9_S9_T1_bT2_lS9_S9_lbT3_lS9_S9_lSA_T4_lS9_S9_l
	.p2align	8
	.type	_ZN9rocsolver6v33100L11gemm_kernelI19rocblas_complex_numIfElPKS3_PS3_PKS6_S6_EEvT0_S9_S9_T1_bT2_lS9_S9_lbT3_lS9_S9_lSA_T4_lS9_S9_l,@function
_ZN9rocsolver6v33100L11gemm_kernelI19rocblas_complex_numIfElPKS3_PS3_PKS6_S6_EEvT0_S9_S9_T1_bT2_lS9_S9_lbT3_lS9_S9_lSA_T4_lS9_S9_l: ; @_ZN9rocsolver6v33100L11gemm_kernelI19rocblas_complex_numIfElPKS3_PS3_PKS6_S6_EEvT0_S9_S9_T1_bT2_lS9_S9_lbT3_lS9_S9_lSA_T4_lS9_S9_l
; %bb.0:
	s_load_b32 s2, s[0:1], 0xbc
	s_bfe_u32 s4, ttmp6, 0x40010
	s_bfe_u32 s7, ttmp6, 0x4000c
	s_and_b32 s3, ttmp7, 0xffff
	s_add_co_i32 s4, s4, 1
	s_add_co_i32 s7, s7, 1
	s_bfe_u32 s5, ttmp6, 0x40004
	s_and_b32 s6, ttmp6, 15
	s_mul_i32 s4, s3, s4
	s_mul_i32 s7, ttmp9, s7
	s_getreg_b32 s16, hwreg(HW_REG_IB_STS2, 6, 4)
	v_mov_b32_e32 v5, 0
	v_and_b32_e32 v4, 0x3ff, v0
	s_add_co_i32 s5, s5, s4
	s_add_co_i32 s6, s6, s7
	s_load_b256 s[8:15], s[0:1], 0x0
	s_wait_kmcnt 0x0
	s_lshr_b32 s4, s2, 16
	s_and_b32 s2, s2, 0xffff
	s_cmp_eq_u32 s16, 0
	s_cselect_b32 s6, ttmp9, s6
	s_delay_alu instid0(SALU_CYCLE_1) | instskip(SKIP_3) | instid1(VALU_DEP_1)
	v_mad_nc_u64_u32 v[2:3], s2, s6, v[4:5]
	v_bfe_u32 v4, v0, 10, 10
	s_cselect_b32 s2, s3, s5
	s_mov_b32 s3, 0
	v_mad_nc_u64_u32 v[0:1], s4, s2, v[4:5]
	s_delay_alu instid0(VALU_DEP_3) | instskip(NEXT) | instid1(VALU_DEP_2)
	v_cmp_gt_i64_e32 vcc_lo, s[8:9], v[2:3]
	v_cmp_gt_i64_e64 s2, s[10:11], v[0:1]
	s_and_b32 s2, vcc_lo, s2
	s_delay_alu instid0(SALU_CYCLE_1)
	s_and_saveexec_b32 s4, s2
	s_cbranch_execz .LBB60_9
; %bb.1:
	s_clause 0x1
	s_load_b256 s[4:11], s[0:1], 0x80
	s_load_b128 s[36:39], s[0:1], 0xa0
	s_load_b64 s[34:35], s[14:15], 0x0
	s_bfe_u32 s2, ttmp6, 0x40014
	s_bfe_u32 s17, ttmp6, 0x40008
	s_add_co_i32 s2, s2, 1
	v_mov_b32_e32 v4, 0
	s_wait_kmcnt 0x0
	s_load_b64 s[14:15], s[4:5], 0x0
	s_wait_xcnt 0x0
	s_lshr_b32 s4, ttmp7, 16
	v_cmp_lt_i64_e64 s5, s[12:13], 1
	s_mul_i32 s2, s4, s2
	s_delay_alu instid0(SALU_CYCLE_1)
	s_add_co_i32 s17, s17, s2
	s_cmp_eq_u32 s16, 0
	s_cselect_b32 s2, s4, s17
	s_and_b32 vcc_lo, exec_lo, s5
	s_cbranch_vccnz .LBB60_8
; %bb.2:
	s_clause 0x3
	s_load_b256 s[16:23], s[0:1], 0x28
	s_load_b256 s[24:31], s[0:1], 0x58
	s_load_b32 s33, s[0:1], 0x20
	s_load_b96 s[40:42], s[0:1], 0x48
	s_wait_kmcnt 0x0
	s_load_b64 s[4:5], s[24:25], s2 offset:0x0 scale_offset
	v_mul_u64_e32 v[4:5], s[20:21], v[2:3]
	v_mul_u64_e32 v[6:7], s[30:31], v[0:1]
	s_bitcmp1_b32 s33, 0
	s_cselect_b32 s0, -1, 0
	s_delay_alu instid0(SALU_CYCLE_1)
	s_xor_b32 s20, s0, -1
	s_bitcmp1_b32 s42, 0
	s_mul_u64 s[0:1], s[40:41], s[2:3]
	s_cselect_b32 s21, -1, 0
	s_lshl_b64 s[18:19], s[18:19], 3
	s_lshl_b64 s[0:1], s[0:1], 3
	s_add_nc_u64 s[16:17], s[16:17], s[18:19]
	s_lshl_b64 s[18:19], s[26:27], 3
	s_add_nc_u64 s[0:1], s[16:17], s[0:1]
	s_wait_kmcnt 0x0
	s_add_nc_u64 s[4:5], s[4:5], s[18:19]
	s_delay_alu instid0(VALU_DEP_2) | instskip(NEXT) | instid1(VALU_DEP_2)
	v_lshl_add_u64 v[4:5], v[4:5], 3, s[0:1]
	v_lshl_add_u64 v[8:9], v[6:7], 3, s[4:5]
	s_lshl_b64 s[0:1], s[22:23], 3
	s_lshl_b64 s[4:5], s[28:29], 3
	s_delay_alu instid0(VALU_DEP_2) | instskip(NEXT) | instid1(VALU_DEP_2)
	v_add_nc_u64_e32 v[6:7], 4, v[4:5]
	v_add_nc_u64_e32 v[8:9], 4, v[8:9]
	v_dual_mov_b32 v5, 0 :: v_dual_mov_b32 v4, 0
	s_branch .LBB60_4
.LBB60_3:                               ;   in Loop: Header=BB60_4 Depth=1
	flat_load_b64 v[12:13], v[8:9] offset:-4
	s_wait_xcnt 0x1
	v_add_nc_u64_e32 v[6:7], s[0:1], v[6:7]
	s_wait_xcnt 0x0
	v_add_nc_u64_e32 v[8:9], s[4:5], v[8:9]
	s_add_nc_u64 s[12:13], s[12:13], -1
	s_delay_alu instid0(SALU_CYCLE_1) | instskip(SKIP_2) | instid1(VALU_DEP_1)
	s_cmp_eq_u64 s[12:13], 0
	s_wait_loadcnt_dscnt 0x0
	v_dual_cndmask_b32 v13, v13, -v13, s21 :: v_dual_mul_f32 v14, v11, v12
	v_dual_mul_f32 v11, v11, v13 :: v_dual_fmac_f32 v14, v13, v10
	s_delay_alu instid0(VALU_DEP_1) | instskip(NEXT) | instid1(VALU_DEP_2)
	v_fma_f32 v10, v12, v10, -v11
	v_add_f32_e32 v5, v5, v14
	s_delay_alu instid0(VALU_DEP_2)
	v_add_f32_e32 v4, v4, v10
	s_cbranch_scc1 .LBB60_8
.LBB60_4:                               ; =>This Inner Loop Header: Depth=1
	s_and_b32 vcc_lo, exec_lo, s20
	s_mov_b32 s16, -1
                                        ; implicit-def: $vgpr11
	s_cbranch_vccz .LBB60_6
; %bb.5:                                ;   in Loop: Header=BB60_4 Depth=1
	global_load_b64 v[10:11], v[6:7], off offset:-4
	s_mov_b32 s16, 0
.LBB60_6:                               ;   in Loop: Header=BB60_4 Depth=1
	s_delay_alu instid0(SALU_CYCLE_1)
	s_and_not1_b32 vcc_lo, exec_lo, s16
	s_cbranch_vccnz .LBB60_3
; %bb.7:                                ;   in Loop: Header=BB60_4 Depth=1
	s_wait_loadcnt 0x0
	global_load_b64 v[10:11], v[6:7], off offset:-4
	s_wait_loadcnt 0x0
	v_xor_b32_e32 v11, 0x80000000, v11
	s_branch .LBB60_3
.LBB60_8:
	v_mul_u64_e32 v[2:3], s[10:11], v[2:3]
	v_mul_u64_e32 v[0:1], s[36:37], v[0:1]
	s_mul_u64 s[0:1], s[38:39], s[2:3]
	s_lshl_b64 s[2:3], s[8:9], 3
	s_lshl_b64 s[0:1], s[0:1], 3
	v_mov_b64_e32 v[8:9], s[34:35]
	s_add_nc_u64 s[0:1], s[6:7], s[0:1]
	s_wait_kmcnt 0x0
	v_mov_b64_e32 v[10:11], s[14:15]
	s_add_nc_u64 s[0:1], s[0:1], s[2:3]
	v_mov_b32_e32 v6, v5
	s_delay_alu instid0(VALU_DEP_1) | instskip(NEXT) | instid1(VALU_DEP_1)
	v_pk_mul_f32 v[6:7], v[8:9], v[6:7] op_sel:[1,0] op_sel_hi:[0,0]
	v_pk_fma_f32 v[14:15], v[8:9], v[4:5], v[6:7] op_sel_hi:[1,0,1]
	v_pk_fma_f32 v[4:5], v[8:9], v[4:5], v[6:7] neg_lo:[0,0,1] neg_hi:[0,0,1]
	s_delay_alu instid0(VALU_DEP_2) | instskip(SKIP_1) | instid1(VALU_DEP_1)
	v_mov_b32_e32 v5, v15
	v_lshl_add_u64 v[2:3], v[2:3], 3, s[0:1]
	v_lshl_add_u64 v[0:1], v[0:1], 3, v[2:3]
	global_load_b64 v[2:3], v[0:1], off
	s_wait_loadcnt 0x0
	v_pk_mul_f32 v[12:13], v[10:11], v[2:3] op_sel:[1,1] op_sel_hi:[0,1]
	s_delay_alu instid0(VALU_DEP_1) | instskip(SKIP_1) | instid1(VALU_DEP_2)
	v_pk_fma_f32 v[16:17], v[10:11], v[2:3], v[12:13] op_sel_hi:[1,0,1]
	v_pk_fma_f32 v[2:3], v[10:11], v[2:3], v[12:13] neg_lo:[0,0,1] neg_hi:[0,0,1]
	v_mov_b32_e32 v3, v17
	s_delay_alu instid0(VALU_DEP_1)
	v_pk_add_f32 v[2:3], v[4:5], v[2:3]
	global_store_b64 v[0:1], v[2:3], off
.LBB60_9:
	s_endpgm
	.section	.rodata,"a",@progbits
	.p2align	6, 0x0
	.amdhsa_kernel _ZN9rocsolver6v33100L11gemm_kernelI19rocblas_complex_numIfElPKS3_PS3_PKS6_S6_EEvT0_S9_S9_T1_bT2_lS9_S9_lbT3_lS9_S9_lSA_T4_lS9_S9_l
		.amdhsa_group_segment_fixed_size 0
		.amdhsa_private_segment_fixed_size 0
		.amdhsa_kernarg_size 432
		.amdhsa_user_sgpr_count 2
		.amdhsa_user_sgpr_dispatch_ptr 0
		.amdhsa_user_sgpr_queue_ptr 0
		.amdhsa_user_sgpr_kernarg_segment_ptr 1
		.amdhsa_user_sgpr_dispatch_id 0
		.amdhsa_user_sgpr_kernarg_preload_length 0
		.amdhsa_user_sgpr_kernarg_preload_offset 0
		.amdhsa_user_sgpr_private_segment_size 0
		.amdhsa_wavefront_size32 1
		.amdhsa_uses_dynamic_stack 0
		.amdhsa_enable_private_segment 0
		.amdhsa_system_sgpr_workgroup_id_x 1
		.amdhsa_system_sgpr_workgroup_id_y 1
		.amdhsa_system_sgpr_workgroup_id_z 1
		.amdhsa_system_sgpr_workgroup_info 0
		.amdhsa_system_vgpr_workitem_id 1
		.amdhsa_next_free_vgpr 18
		.amdhsa_next_free_sgpr 43
		.amdhsa_named_barrier_count 0
		.amdhsa_reserve_vcc 1
		.amdhsa_float_round_mode_32 0
		.amdhsa_float_round_mode_16_64 0
		.amdhsa_float_denorm_mode_32 3
		.amdhsa_float_denorm_mode_16_64 3
		.amdhsa_fp16_overflow 0
		.amdhsa_memory_ordered 1
		.amdhsa_forward_progress 1
		.amdhsa_inst_pref_size 7
		.amdhsa_round_robin_scheduling 0
		.amdhsa_exception_fp_ieee_invalid_op 0
		.amdhsa_exception_fp_denorm_src 0
		.amdhsa_exception_fp_ieee_div_zero 0
		.amdhsa_exception_fp_ieee_overflow 0
		.amdhsa_exception_fp_ieee_underflow 0
		.amdhsa_exception_fp_ieee_inexact 0
		.amdhsa_exception_int_div_zero 0
	.end_amdhsa_kernel
	.section	.text._ZN9rocsolver6v33100L11gemm_kernelI19rocblas_complex_numIfElPKS3_PS3_PKS6_S6_EEvT0_S9_S9_T1_bT2_lS9_S9_lbT3_lS9_S9_lSA_T4_lS9_S9_l,"axG",@progbits,_ZN9rocsolver6v33100L11gemm_kernelI19rocblas_complex_numIfElPKS3_PS3_PKS6_S6_EEvT0_S9_S9_T1_bT2_lS9_S9_lbT3_lS9_S9_lSA_T4_lS9_S9_l,comdat
.Lfunc_end60:
	.size	_ZN9rocsolver6v33100L11gemm_kernelI19rocblas_complex_numIfElPKS3_PS3_PKS6_S6_EEvT0_S9_S9_T1_bT2_lS9_S9_lbT3_lS9_S9_lSA_T4_lS9_S9_l, .Lfunc_end60-_ZN9rocsolver6v33100L11gemm_kernelI19rocblas_complex_numIfElPKS3_PS3_PKS6_S6_EEvT0_S9_S9_T1_bT2_lS9_S9_lbT3_lS9_S9_lSA_T4_lS9_S9_l
                                        ; -- End function
	.set _ZN9rocsolver6v33100L11gemm_kernelI19rocblas_complex_numIfElPKS3_PS3_PKS6_S6_EEvT0_S9_S9_T1_bT2_lS9_S9_lbT3_lS9_S9_lSA_T4_lS9_S9_l.num_vgpr, 18
	.set _ZN9rocsolver6v33100L11gemm_kernelI19rocblas_complex_numIfElPKS3_PS3_PKS6_S6_EEvT0_S9_S9_T1_bT2_lS9_S9_lbT3_lS9_S9_lSA_T4_lS9_S9_l.num_agpr, 0
	.set _ZN9rocsolver6v33100L11gemm_kernelI19rocblas_complex_numIfElPKS3_PS3_PKS6_S6_EEvT0_S9_S9_T1_bT2_lS9_S9_lbT3_lS9_S9_lSA_T4_lS9_S9_l.numbered_sgpr, 43
	.set _ZN9rocsolver6v33100L11gemm_kernelI19rocblas_complex_numIfElPKS3_PS3_PKS6_S6_EEvT0_S9_S9_T1_bT2_lS9_S9_lbT3_lS9_S9_lSA_T4_lS9_S9_l.num_named_barrier, 0
	.set _ZN9rocsolver6v33100L11gemm_kernelI19rocblas_complex_numIfElPKS3_PS3_PKS6_S6_EEvT0_S9_S9_T1_bT2_lS9_S9_lbT3_lS9_S9_lSA_T4_lS9_S9_l.private_seg_size, 0
	.set _ZN9rocsolver6v33100L11gemm_kernelI19rocblas_complex_numIfElPKS3_PS3_PKS6_S6_EEvT0_S9_S9_T1_bT2_lS9_S9_lbT3_lS9_S9_lSA_T4_lS9_S9_l.uses_vcc, 1
	.set _ZN9rocsolver6v33100L11gemm_kernelI19rocblas_complex_numIfElPKS3_PS3_PKS6_S6_EEvT0_S9_S9_T1_bT2_lS9_S9_lbT3_lS9_S9_lSA_T4_lS9_S9_l.uses_flat_scratch, 0
	.set _ZN9rocsolver6v33100L11gemm_kernelI19rocblas_complex_numIfElPKS3_PS3_PKS6_S6_EEvT0_S9_S9_T1_bT2_lS9_S9_lbT3_lS9_S9_lSA_T4_lS9_S9_l.has_dyn_sized_stack, 0
	.set _ZN9rocsolver6v33100L11gemm_kernelI19rocblas_complex_numIfElPKS3_PS3_PKS6_S6_EEvT0_S9_S9_T1_bT2_lS9_S9_lbT3_lS9_S9_lSA_T4_lS9_S9_l.has_recursion, 0
	.set _ZN9rocsolver6v33100L11gemm_kernelI19rocblas_complex_numIfElPKS3_PS3_PKS6_S6_EEvT0_S9_S9_T1_bT2_lS9_S9_lbT3_lS9_S9_lSA_T4_lS9_S9_l.has_indirect_call, 0
	.section	.AMDGPU.csdata,"",@progbits
; Kernel info:
; codeLenInByte = 792
; TotalNumSgprs: 45
; NumVgprs: 18
; ScratchSize: 0
; MemoryBound: 0
; FloatMode: 240
; IeeeMode: 1
; LDSByteSize: 0 bytes/workgroup (compile time only)
; SGPRBlocks: 0
; VGPRBlocks: 1
; NumSGPRsForWavesPerEU: 45
; NumVGPRsForWavesPerEU: 18
; NamedBarCnt: 0
; Occupancy: 16
; WaveLimiterHint : 0
; COMPUTE_PGM_RSRC2:SCRATCH_EN: 0
; COMPUTE_PGM_RSRC2:USER_SGPR: 2
; COMPUTE_PGM_RSRC2:TRAP_HANDLER: 0
; COMPUTE_PGM_RSRC2:TGID_X_EN: 1
; COMPUTE_PGM_RSRC2:TGID_Y_EN: 1
; COMPUTE_PGM_RSRC2:TGID_Z_EN: 1
; COMPUTE_PGM_RSRC2:TIDIG_COMP_CNT: 1
	.section	.text._ZN9rocsolver6v33100L11gemm_kernelI19rocblas_complex_numIfElS3_PS3_PKS4_S4_EEvT0_S7_S7_T1_bT2_lS7_S7_lbT3_lS7_S7_lS8_T4_lS7_S7_l,"axG",@progbits,_ZN9rocsolver6v33100L11gemm_kernelI19rocblas_complex_numIfElS3_PS3_PKS4_S4_EEvT0_S7_S7_T1_bT2_lS7_S7_lbT3_lS7_S7_lS8_T4_lS7_S7_l,comdat
	.globl	_ZN9rocsolver6v33100L11gemm_kernelI19rocblas_complex_numIfElS3_PS3_PKS4_S4_EEvT0_S7_S7_T1_bT2_lS7_S7_lbT3_lS7_S7_lS8_T4_lS7_S7_l ; -- Begin function _ZN9rocsolver6v33100L11gemm_kernelI19rocblas_complex_numIfElS3_PS3_PKS4_S4_EEvT0_S7_S7_T1_bT2_lS7_S7_lbT3_lS7_S7_lS8_T4_lS7_S7_l
	.p2align	8
	.type	_ZN9rocsolver6v33100L11gemm_kernelI19rocblas_complex_numIfElS3_PS3_PKS4_S4_EEvT0_S7_S7_T1_bT2_lS7_S7_lbT3_lS7_S7_lS8_T4_lS7_S7_l,@function
_ZN9rocsolver6v33100L11gemm_kernelI19rocblas_complex_numIfElS3_PS3_PKS4_S4_EEvT0_S7_S7_T1_bT2_lS7_S7_lbT3_lS7_S7_lS8_T4_lS7_S7_l: ; @_ZN9rocsolver6v33100L11gemm_kernelI19rocblas_complex_numIfElS3_PS3_PKS4_S4_EEvT0_S7_S7_T1_bT2_lS7_S7_lbT3_lS7_S7_lS8_T4_lS7_S7_l
; %bb.0:
	s_clause 0x1
	s_load_b32 s2, s[0:1], 0xbc
	s_load_b128 s[8:11], s[0:1], 0x0
	s_bfe_u32 s5, ttmp6, 0x40010
	s_bfe_u32 s12, ttmp6, 0x4000c
	s_and_b32 s3, ttmp7, 0xffff
	s_add_co_i32 s5, s5, 1
	s_add_co_i32 s12, s12, 1
	s_bfe_u32 s6, ttmp6, 0x40004
	s_and_b32 s7, ttmp6, 15
	s_mul_i32 s5, s3, s5
	s_mul_i32 s12, ttmp9, s12
	s_getreg_b32 s4, hwreg(HW_REG_IB_STS2, 6, 4)
	v_mov_b32_e32 v5, 0
	v_and_b32_e32 v4, 0x3ff, v0
	s_add_co_i32 s6, s6, s5
	s_add_co_i32 s7, s7, s12
	s_mov_b32 s25, 0
	s_wait_kmcnt 0x0
	s_lshr_b32 s5, s2, 16
	s_and_b32 s2, s2, 0xffff
	s_cmp_eq_u32 s4, 0
	s_cselect_b32 s7, ttmp9, s7
	s_delay_alu instid0(SALU_CYCLE_1)
	v_mad_nc_u64_u32 v[2:3], s2, s7, v[4:5]
	v_bfe_u32 v4, v0, 10, 10
	s_cselect_b32 s2, s3, s6
	s_delay_alu instid0(VALU_DEP_1) | instid1(SALU_CYCLE_1)
	v_mad_nc_u64_u32 v[0:1], s5, s2, v[4:5]
	s_delay_alu instid0(VALU_DEP_3) | instskip(NEXT) | instid1(VALU_DEP_2)
	v_cmp_gt_i64_e32 vcc_lo, s[8:9], v[2:3]
	v_cmp_gt_i64_e64 s2, s[10:11], v[0:1]
	s_and_b32 s2, vcc_lo, s2
	s_delay_alu instid0(SALU_CYCLE_1)
	s_and_saveexec_b32 s3, s2
	s_cbranch_execz .LBB61_9
; %bb.1:
	s_clause 0x2
	s_load_b64 s[26:27], s[0:1], 0x10
	s_load_b96 s[20:22], s[0:1], 0x18
	s_load_b64 s[2:3], s[0:1], 0x80
	s_bfe_u32 s6, ttmp6, 0x40014
	s_lshr_b32 s5, ttmp7, 16
	s_add_co_i32 s6, s6, 1
	s_bfe_u32 s7, ttmp6, 0x40008
	s_mul_i32 s6, s5, s6
	v_mov_b32_e32 v4, 0
	s_add_co_i32 s7, s7, s6
	s_cmp_eq_u32 s4, 0
	s_cselect_b32 s24, s5, s7
	s_wait_kmcnt 0x0
	v_cmp_lt_i64_e64 s8, s[26:27], 1
	s_and_b32 vcc_lo, exec_lo, s8
	s_cbranch_vccnz .LBB61_8
; %bb.2:
	s_clause 0x1
	s_load_b256 s[4:11], s[0:1], 0x28
	s_load_b256 s[12:19], s[0:1], 0x58
	s_bitcmp1_b32 s22, 0
	s_wait_kmcnt 0x0
	v_mul_u64_e32 v[4:5], s[8:9], v[2:3]
	v_mul_u64_e32 v[6:7], s[18:19], v[0:1]
	s_load_b96 s[28:30], s[0:1], 0x48
	s_load_b64 s[18:19], s[12:13], s24 offset:0x0 scale_offset
	s_cselect_b32 s8, -1, 0
	s_delay_alu instid0(SALU_CYCLE_1)
	s_xor_b32 s8, s8, -1
	s_wait_kmcnt 0x0
	s_bitcmp1_b32 s30, 0
	s_mul_u64 s[12:13], s[28:29], s[24:25]
	s_cselect_b32 s9, -1, 0
	s_lshl_b64 s[6:7], s[6:7], 3
	s_lshl_b64 s[12:13], s[12:13], 3
	s_add_nc_u64 s[4:5], s[4:5], s[6:7]
	s_lshl_b64 s[6:7], s[14:15], 3
	s_add_nc_u64 s[4:5], s[4:5], s[12:13]
	s_add_nc_u64 s[6:7], s[18:19], s[6:7]
	s_delay_alu instid0(VALU_DEP_2) | instskip(NEXT) | instid1(VALU_DEP_2)
	v_lshl_add_u64 v[4:5], v[4:5], 3, s[4:5]
	v_lshl_add_u64 v[8:9], v[6:7], 3, s[6:7]
	s_lshl_b64 s[4:5], s[10:11], 3
	s_lshl_b64 s[6:7], s[16:17], 3
	s_delay_alu instid0(VALU_DEP_2) | instskip(NEXT) | instid1(VALU_DEP_2)
	v_add_nc_u64_e32 v[6:7], 4, v[4:5]
	v_add_nc_u64_e32 v[8:9], 4, v[8:9]
	v_dual_mov_b32 v5, 0 :: v_dual_mov_b32 v4, 0
	s_branch .LBB61_4
.LBB61_3:                               ;   in Loop: Header=BB61_4 Depth=1
	flat_load_b64 v[12:13], v[8:9] offset:-4
	s_wait_xcnt 0x1
	v_add_nc_u64_e32 v[6:7], s[4:5], v[6:7]
	s_wait_xcnt 0x0
	v_add_nc_u64_e32 v[8:9], s[6:7], v[8:9]
	s_add_nc_u64 s[26:27], s[26:27], -1
	s_delay_alu instid0(SALU_CYCLE_1) | instskip(SKIP_2) | instid1(VALU_DEP_1)
	s_cmp_eq_u64 s[26:27], 0
	s_wait_loadcnt_dscnt 0x0
	v_dual_cndmask_b32 v13, v13, -v13, s9 :: v_dual_mul_f32 v14, v11, v12
	v_dual_mul_f32 v11, v11, v13 :: v_dual_fmac_f32 v14, v13, v10
	s_delay_alu instid0(VALU_DEP_1) | instskip(NEXT) | instid1(VALU_DEP_2)
	v_fma_f32 v10, v12, v10, -v11
	v_add_f32_e32 v5, v5, v14
	s_delay_alu instid0(VALU_DEP_2)
	v_add_f32_e32 v4, v4, v10
	s_cbranch_scc1 .LBB61_8
.LBB61_4:                               ; =>This Inner Loop Header: Depth=1
	s_and_b32 vcc_lo, exec_lo, s8
	s_mov_b32 s10, -1
                                        ; implicit-def: $vgpr11
	s_cbranch_vccz .LBB61_6
; %bb.5:                                ;   in Loop: Header=BB61_4 Depth=1
	global_load_b64 v[10:11], v[6:7], off offset:-4
	s_mov_b32 s10, 0
.LBB61_6:                               ;   in Loop: Header=BB61_4 Depth=1
	s_delay_alu instid0(SALU_CYCLE_1)
	s_and_not1_b32 vcc_lo, exec_lo, s10
	s_cbranch_vccnz .LBB61_3
; %bb.7:                                ;   in Loop: Header=BB61_4 Depth=1
	s_wait_loadcnt 0x0
	global_load_b64 v[10:11], v[6:7], off offset:-4
	s_wait_loadcnt 0x0
	v_xor_b32_e32 v11, 0x80000000, v11
	s_branch .LBB61_3
.LBB61_8:
	s_load_b256 s[4:11], s[0:1], 0x88
	v_mov_b64_e32 v[8:9], s[20:21]
	s_wait_xcnt 0x0
	s_load_b64 s[0:1], s[0:1], 0xa8
	v_mov_b64_e32 v[10:11], s[2:3]
	v_mov_b32_e32 v6, v5
	s_delay_alu instid0(VALU_DEP_1) | instskip(NEXT) | instid1(VALU_DEP_1)
	v_pk_mul_f32 v[6:7], v[8:9], v[6:7] op_sel:[1,0] op_sel_hi:[0,0]
	v_pk_fma_f32 v[14:15], v[8:9], v[4:5], v[6:7] op_sel_hi:[1,0,1]
	v_pk_fma_f32 v[4:5], v[8:9], v[4:5], v[6:7] neg_lo:[0,0,1] neg_hi:[0,0,1]
	s_delay_alu instid0(VALU_DEP_2) | instskip(SKIP_4) | instid1(SALU_CYCLE_1)
	v_mov_b32_e32 v5, v15
	s_wait_kmcnt 0x0
	v_mul_u64_e32 v[2:3], s[8:9], v[2:3]
	v_mul_u64_e32 v[0:1], s[10:11], v[0:1]
	s_mul_u64 s[0:1], s[0:1], s[24:25]
	s_lshl_b64 s[0:1], s[0:1], 3
	s_delay_alu instid0(SALU_CYCLE_1) | instskip(SKIP_1) | instid1(SALU_CYCLE_1)
	s_add_nc_u64 s[0:1], s[4:5], s[0:1]
	s_lshl_b64 s[4:5], s[6:7], 3
	s_add_nc_u64 s[0:1], s[0:1], s[4:5]
	s_delay_alu instid0(VALU_DEP_2) | instid1(SALU_CYCLE_1)
	v_lshl_add_u64 v[2:3], v[2:3], 3, s[0:1]
	s_delay_alu instid0(VALU_DEP_1) | instskip(SKIP_3) | instid1(VALU_DEP_1)
	v_lshl_add_u64 v[0:1], v[0:1], 3, v[2:3]
	global_load_b64 v[2:3], v[0:1], off
	s_wait_loadcnt 0x0
	v_pk_mul_f32 v[12:13], v[10:11], v[2:3] op_sel:[1,1] op_sel_hi:[0,1]
	v_pk_fma_f32 v[16:17], v[10:11], v[2:3], v[12:13] op_sel_hi:[1,0,1]
	v_pk_fma_f32 v[2:3], v[10:11], v[2:3], v[12:13] neg_lo:[0,0,1] neg_hi:[0,0,1]
	s_delay_alu instid0(VALU_DEP_2) | instskip(NEXT) | instid1(VALU_DEP_1)
	v_mov_b32_e32 v3, v17
	v_pk_add_f32 v[2:3], v[4:5], v[2:3]
	global_store_b64 v[0:1], v[2:3], off
.LBB61_9:
	s_endpgm
	.section	.rodata,"a",@progbits
	.p2align	6, 0x0
	.amdhsa_kernel _ZN9rocsolver6v33100L11gemm_kernelI19rocblas_complex_numIfElS3_PS3_PKS4_S4_EEvT0_S7_S7_T1_bT2_lS7_S7_lbT3_lS7_S7_lS8_T4_lS7_S7_l
		.amdhsa_group_segment_fixed_size 0
		.amdhsa_private_segment_fixed_size 0
		.amdhsa_kernarg_size 432
		.amdhsa_user_sgpr_count 2
		.amdhsa_user_sgpr_dispatch_ptr 0
		.amdhsa_user_sgpr_queue_ptr 0
		.amdhsa_user_sgpr_kernarg_segment_ptr 1
		.amdhsa_user_sgpr_dispatch_id 0
		.amdhsa_user_sgpr_kernarg_preload_length 0
		.amdhsa_user_sgpr_kernarg_preload_offset 0
		.amdhsa_user_sgpr_private_segment_size 0
		.amdhsa_wavefront_size32 1
		.amdhsa_uses_dynamic_stack 0
		.amdhsa_enable_private_segment 0
		.amdhsa_system_sgpr_workgroup_id_x 1
		.amdhsa_system_sgpr_workgroup_id_y 1
		.amdhsa_system_sgpr_workgroup_id_z 1
		.amdhsa_system_sgpr_workgroup_info 0
		.amdhsa_system_vgpr_workitem_id 1
		.amdhsa_next_free_vgpr 18
		.amdhsa_next_free_sgpr 31
		.amdhsa_named_barrier_count 0
		.amdhsa_reserve_vcc 1
		.amdhsa_float_round_mode_32 0
		.amdhsa_float_round_mode_16_64 0
		.amdhsa_float_denorm_mode_32 3
		.amdhsa_float_denorm_mode_16_64 3
		.amdhsa_fp16_overflow 0
		.amdhsa_memory_ordered 1
		.amdhsa_forward_progress 1
		.amdhsa_inst_pref_size 7
		.amdhsa_round_robin_scheduling 0
		.amdhsa_exception_fp_ieee_invalid_op 0
		.amdhsa_exception_fp_denorm_src 0
		.amdhsa_exception_fp_ieee_div_zero 0
		.amdhsa_exception_fp_ieee_overflow 0
		.amdhsa_exception_fp_ieee_underflow 0
		.amdhsa_exception_fp_ieee_inexact 0
		.amdhsa_exception_int_div_zero 0
	.end_amdhsa_kernel
	.section	.text._ZN9rocsolver6v33100L11gemm_kernelI19rocblas_complex_numIfElS3_PS3_PKS4_S4_EEvT0_S7_S7_T1_bT2_lS7_S7_lbT3_lS7_S7_lS8_T4_lS7_S7_l,"axG",@progbits,_ZN9rocsolver6v33100L11gemm_kernelI19rocblas_complex_numIfElS3_PS3_PKS4_S4_EEvT0_S7_S7_T1_bT2_lS7_S7_lbT3_lS7_S7_lS8_T4_lS7_S7_l,comdat
.Lfunc_end61:
	.size	_ZN9rocsolver6v33100L11gemm_kernelI19rocblas_complex_numIfElS3_PS3_PKS4_S4_EEvT0_S7_S7_T1_bT2_lS7_S7_lbT3_lS7_S7_lS8_T4_lS7_S7_l, .Lfunc_end61-_ZN9rocsolver6v33100L11gemm_kernelI19rocblas_complex_numIfElS3_PS3_PKS4_S4_EEvT0_S7_S7_T1_bT2_lS7_S7_lbT3_lS7_S7_lS8_T4_lS7_S7_l
                                        ; -- End function
	.set _ZN9rocsolver6v33100L11gemm_kernelI19rocblas_complex_numIfElS3_PS3_PKS4_S4_EEvT0_S7_S7_T1_bT2_lS7_S7_lbT3_lS7_S7_lS8_T4_lS7_S7_l.num_vgpr, 18
	.set _ZN9rocsolver6v33100L11gemm_kernelI19rocblas_complex_numIfElS3_PS3_PKS4_S4_EEvT0_S7_S7_T1_bT2_lS7_S7_lbT3_lS7_S7_lS8_T4_lS7_S7_l.num_agpr, 0
	.set _ZN9rocsolver6v33100L11gemm_kernelI19rocblas_complex_numIfElS3_PS3_PKS4_S4_EEvT0_S7_S7_T1_bT2_lS7_S7_lbT3_lS7_S7_lS8_T4_lS7_S7_l.numbered_sgpr, 31
	.set _ZN9rocsolver6v33100L11gemm_kernelI19rocblas_complex_numIfElS3_PS3_PKS4_S4_EEvT0_S7_S7_T1_bT2_lS7_S7_lbT3_lS7_S7_lS8_T4_lS7_S7_l.num_named_barrier, 0
	.set _ZN9rocsolver6v33100L11gemm_kernelI19rocblas_complex_numIfElS3_PS3_PKS4_S4_EEvT0_S7_S7_T1_bT2_lS7_S7_lbT3_lS7_S7_lS8_T4_lS7_S7_l.private_seg_size, 0
	.set _ZN9rocsolver6v33100L11gemm_kernelI19rocblas_complex_numIfElS3_PS3_PKS4_S4_EEvT0_S7_S7_T1_bT2_lS7_S7_lbT3_lS7_S7_lS8_T4_lS7_S7_l.uses_vcc, 1
	.set _ZN9rocsolver6v33100L11gemm_kernelI19rocblas_complex_numIfElS3_PS3_PKS4_S4_EEvT0_S7_S7_T1_bT2_lS7_S7_lbT3_lS7_S7_lS8_T4_lS7_S7_l.uses_flat_scratch, 0
	.set _ZN9rocsolver6v33100L11gemm_kernelI19rocblas_complex_numIfElS3_PS3_PKS4_S4_EEvT0_S7_S7_T1_bT2_lS7_S7_lbT3_lS7_S7_lS8_T4_lS7_S7_l.has_dyn_sized_stack, 0
	.set _ZN9rocsolver6v33100L11gemm_kernelI19rocblas_complex_numIfElS3_PS3_PKS4_S4_EEvT0_S7_S7_T1_bT2_lS7_S7_lbT3_lS7_S7_lS8_T4_lS7_S7_l.has_recursion, 0
	.set _ZN9rocsolver6v33100L11gemm_kernelI19rocblas_complex_numIfElS3_PS3_PKS4_S4_EEvT0_S7_S7_T1_bT2_lS7_S7_lbT3_lS7_S7_lS8_T4_lS7_S7_l.has_indirect_call, 0
	.section	.AMDGPU.csdata,"",@progbits
; Kernel info:
; codeLenInByte = 804
; TotalNumSgprs: 33
; NumVgprs: 18
; ScratchSize: 0
; MemoryBound: 0
; FloatMode: 240
; IeeeMode: 1
; LDSByteSize: 0 bytes/workgroup (compile time only)
; SGPRBlocks: 0
; VGPRBlocks: 1
; NumSGPRsForWavesPerEU: 33
; NumVGPRsForWavesPerEU: 18
; NamedBarCnt: 0
; Occupancy: 16
; WaveLimiterHint : 1
; COMPUTE_PGM_RSRC2:SCRATCH_EN: 0
; COMPUTE_PGM_RSRC2:USER_SGPR: 2
; COMPUTE_PGM_RSRC2:TRAP_HANDLER: 0
; COMPUTE_PGM_RSRC2:TGID_X_EN: 1
; COMPUTE_PGM_RSRC2:TGID_Y_EN: 1
; COMPUTE_PGM_RSRC2:TGID_Z_EN: 1
; COMPUTE_PGM_RSRC2:TIDIG_COMP_CNT: 1
	.section	.text._ZN9rocsolver6v33100L16mfma_gemm_kernelI19rocblas_complex_numIfElPKS3_PS3_S6_PKS6_EEv18rocblas_operation_S9_T0_SA_SA_T1_T2_lSA_SA_lT3_lSA_SA_lSB_T4_lSA_SA_l,"axG",@progbits,_ZN9rocsolver6v33100L16mfma_gemm_kernelI19rocblas_complex_numIfElPKS3_PS3_S6_PKS6_EEv18rocblas_operation_S9_T0_SA_SA_T1_T2_lSA_SA_lT3_lSA_SA_lSB_T4_lSA_SA_l,comdat
	.globl	_ZN9rocsolver6v33100L16mfma_gemm_kernelI19rocblas_complex_numIfElPKS3_PS3_S6_PKS6_EEv18rocblas_operation_S9_T0_SA_SA_T1_T2_lSA_SA_lT3_lSA_SA_lSB_T4_lSA_SA_l ; -- Begin function _ZN9rocsolver6v33100L16mfma_gemm_kernelI19rocblas_complex_numIfElPKS3_PS3_S6_PKS6_EEv18rocblas_operation_S9_T0_SA_SA_T1_T2_lSA_SA_lT3_lSA_SA_lSB_T4_lSA_SA_l
	.p2align	8
	.type	_ZN9rocsolver6v33100L16mfma_gemm_kernelI19rocblas_complex_numIfElPKS3_PS3_S6_PKS6_EEv18rocblas_operation_S9_T0_SA_SA_T1_T2_lSA_SA_lT3_lSA_SA_lSB_T4_lSA_SA_l,@function
_ZN9rocsolver6v33100L16mfma_gemm_kernelI19rocblas_complex_numIfElPKS3_PS3_S6_PKS6_EEv18rocblas_operation_S9_T0_SA_SA_T1_T2_lSA_SA_lT3_lSA_SA_lSB_T4_lSA_SA_l: ; @_ZN9rocsolver6v33100L16mfma_gemm_kernelI19rocblas_complex_numIfElPKS3_PS3_S6_PKS6_EEv18rocblas_operation_S9_T0_SA_SA_T1_T2_lSA_SA_lT3_lSA_SA_lSB_T4_lSA_SA_l
; %bb.0:
	s_endpgm
	.section	.rodata,"a",@progbits
	.p2align	6, 0x0
	.amdhsa_kernel _ZN9rocsolver6v33100L16mfma_gemm_kernelI19rocblas_complex_numIfElPKS3_PS3_S6_PKS6_EEv18rocblas_operation_S9_T0_SA_SA_T1_T2_lSA_SA_lT3_lSA_SA_lSB_T4_lSA_SA_l
		.amdhsa_group_segment_fixed_size 0
		.amdhsa_private_segment_fixed_size 0
		.amdhsa_kernarg_size 168
		.amdhsa_user_sgpr_count 2
		.amdhsa_user_sgpr_dispatch_ptr 0
		.amdhsa_user_sgpr_queue_ptr 0
		.amdhsa_user_sgpr_kernarg_segment_ptr 1
		.amdhsa_user_sgpr_dispatch_id 0
		.amdhsa_user_sgpr_kernarg_preload_length 0
		.amdhsa_user_sgpr_kernarg_preload_offset 0
		.amdhsa_user_sgpr_private_segment_size 0
		.amdhsa_wavefront_size32 1
		.amdhsa_uses_dynamic_stack 0
		.amdhsa_enable_private_segment 0
		.amdhsa_system_sgpr_workgroup_id_x 1
		.amdhsa_system_sgpr_workgroup_id_y 0
		.amdhsa_system_sgpr_workgroup_id_z 0
		.amdhsa_system_sgpr_workgroup_info 0
		.amdhsa_system_vgpr_workitem_id 0
		.amdhsa_next_free_vgpr 1
		.amdhsa_next_free_sgpr 1
		.amdhsa_named_barrier_count 0
		.amdhsa_reserve_vcc 0
		.amdhsa_float_round_mode_32 0
		.amdhsa_float_round_mode_16_64 0
		.amdhsa_float_denorm_mode_32 3
		.amdhsa_float_denorm_mode_16_64 3
		.amdhsa_fp16_overflow 0
		.amdhsa_memory_ordered 1
		.amdhsa_forward_progress 1
		.amdhsa_inst_pref_size 1
		.amdhsa_round_robin_scheduling 0
		.amdhsa_exception_fp_ieee_invalid_op 0
		.amdhsa_exception_fp_denorm_src 0
		.amdhsa_exception_fp_ieee_div_zero 0
		.amdhsa_exception_fp_ieee_overflow 0
		.amdhsa_exception_fp_ieee_underflow 0
		.amdhsa_exception_fp_ieee_inexact 0
		.amdhsa_exception_int_div_zero 0
	.end_amdhsa_kernel
	.section	.text._ZN9rocsolver6v33100L16mfma_gemm_kernelI19rocblas_complex_numIfElPKS3_PS3_S6_PKS6_EEv18rocblas_operation_S9_T0_SA_SA_T1_T2_lSA_SA_lT3_lSA_SA_lSB_T4_lSA_SA_l,"axG",@progbits,_ZN9rocsolver6v33100L16mfma_gemm_kernelI19rocblas_complex_numIfElPKS3_PS3_S6_PKS6_EEv18rocblas_operation_S9_T0_SA_SA_T1_T2_lSA_SA_lT3_lSA_SA_lSB_T4_lSA_SA_l,comdat
.Lfunc_end62:
	.size	_ZN9rocsolver6v33100L16mfma_gemm_kernelI19rocblas_complex_numIfElPKS3_PS3_S6_PKS6_EEv18rocblas_operation_S9_T0_SA_SA_T1_T2_lSA_SA_lT3_lSA_SA_lSB_T4_lSA_SA_l, .Lfunc_end62-_ZN9rocsolver6v33100L16mfma_gemm_kernelI19rocblas_complex_numIfElPKS3_PS3_S6_PKS6_EEv18rocblas_operation_S9_T0_SA_SA_T1_T2_lSA_SA_lT3_lSA_SA_lSB_T4_lSA_SA_l
                                        ; -- End function
	.set _ZN9rocsolver6v33100L16mfma_gemm_kernelI19rocblas_complex_numIfElPKS3_PS3_S6_PKS6_EEv18rocblas_operation_S9_T0_SA_SA_T1_T2_lSA_SA_lT3_lSA_SA_lSB_T4_lSA_SA_l.num_vgpr, 0
	.set _ZN9rocsolver6v33100L16mfma_gemm_kernelI19rocblas_complex_numIfElPKS3_PS3_S6_PKS6_EEv18rocblas_operation_S9_T0_SA_SA_T1_T2_lSA_SA_lT3_lSA_SA_lSB_T4_lSA_SA_l.num_agpr, 0
	.set _ZN9rocsolver6v33100L16mfma_gemm_kernelI19rocblas_complex_numIfElPKS3_PS3_S6_PKS6_EEv18rocblas_operation_S9_T0_SA_SA_T1_T2_lSA_SA_lT3_lSA_SA_lSB_T4_lSA_SA_l.numbered_sgpr, 0
	.set _ZN9rocsolver6v33100L16mfma_gemm_kernelI19rocblas_complex_numIfElPKS3_PS3_S6_PKS6_EEv18rocblas_operation_S9_T0_SA_SA_T1_T2_lSA_SA_lT3_lSA_SA_lSB_T4_lSA_SA_l.num_named_barrier, 0
	.set _ZN9rocsolver6v33100L16mfma_gemm_kernelI19rocblas_complex_numIfElPKS3_PS3_S6_PKS6_EEv18rocblas_operation_S9_T0_SA_SA_T1_T2_lSA_SA_lT3_lSA_SA_lSB_T4_lSA_SA_l.private_seg_size, 0
	.set _ZN9rocsolver6v33100L16mfma_gemm_kernelI19rocblas_complex_numIfElPKS3_PS3_S6_PKS6_EEv18rocblas_operation_S9_T0_SA_SA_T1_T2_lSA_SA_lT3_lSA_SA_lSB_T4_lSA_SA_l.uses_vcc, 0
	.set _ZN9rocsolver6v33100L16mfma_gemm_kernelI19rocblas_complex_numIfElPKS3_PS3_S6_PKS6_EEv18rocblas_operation_S9_T0_SA_SA_T1_T2_lSA_SA_lT3_lSA_SA_lSB_T4_lSA_SA_l.uses_flat_scratch, 0
	.set _ZN9rocsolver6v33100L16mfma_gemm_kernelI19rocblas_complex_numIfElPKS3_PS3_S6_PKS6_EEv18rocblas_operation_S9_T0_SA_SA_T1_T2_lSA_SA_lT3_lSA_SA_lSB_T4_lSA_SA_l.has_dyn_sized_stack, 0
	.set _ZN9rocsolver6v33100L16mfma_gemm_kernelI19rocblas_complex_numIfElPKS3_PS3_S6_PKS6_EEv18rocblas_operation_S9_T0_SA_SA_T1_T2_lSA_SA_lT3_lSA_SA_lSB_T4_lSA_SA_l.has_recursion, 0
	.set _ZN9rocsolver6v33100L16mfma_gemm_kernelI19rocblas_complex_numIfElPKS3_PS3_S6_PKS6_EEv18rocblas_operation_S9_T0_SA_SA_T1_T2_lSA_SA_lT3_lSA_SA_lSB_T4_lSA_SA_l.has_indirect_call, 0
	.section	.AMDGPU.csdata,"",@progbits
; Kernel info:
; codeLenInByte = 4
; TotalNumSgprs: 0
; NumVgprs: 0
; ScratchSize: 0
; MemoryBound: 0
; FloatMode: 240
; IeeeMode: 1
; LDSByteSize: 0 bytes/workgroup (compile time only)
; SGPRBlocks: 0
; VGPRBlocks: 0
; NumSGPRsForWavesPerEU: 1
; NumVGPRsForWavesPerEU: 1
; NamedBarCnt: 0
; Occupancy: 16
; WaveLimiterHint : 0
; COMPUTE_PGM_RSRC2:SCRATCH_EN: 0
; COMPUTE_PGM_RSRC2:USER_SGPR: 2
; COMPUTE_PGM_RSRC2:TRAP_HANDLER: 0
; COMPUTE_PGM_RSRC2:TGID_X_EN: 1
; COMPUTE_PGM_RSRC2:TGID_Y_EN: 0
; COMPUTE_PGM_RSRC2:TGID_Z_EN: 0
; COMPUTE_PGM_RSRC2:TIDIG_COMP_CNT: 0
	.section	.text._ZN9rocsolver6v33100L16mfma_gemm_kernelI19rocblas_complex_numIfElS3_PS3_S4_PKS4_EEv18rocblas_operation_S7_T0_S8_S8_T1_T2_lS8_S8_lT3_lS8_S8_lS9_T4_lS8_S8_l,"axG",@progbits,_ZN9rocsolver6v33100L16mfma_gemm_kernelI19rocblas_complex_numIfElS3_PS3_S4_PKS4_EEv18rocblas_operation_S7_T0_S8_S8_T1_T2_lS8_S8_lT3_lS8_S8_lS9_T4_lS8_S8_l,comdat
	.globl	_ZN9rocsolver6v33100L16mfma_gemm_kernelI19rocblas_complex_numIfElS3_PS3_S4_PKS4_EEv18rocblas_operation_S7_T0_S8_S8_T1_T2_lS8_S8_lT3_lS8_S8_lS9_T4_lS8_S8_l ; -- Begin function _ZN9rocsolver6v33100L16mfma_gemm_kernelI19rocblas_complex_numIfElS3_PS3_S4_PKS4_EEv18rocblas_operation_S7_T0_S8_S8_T1_T2_lS8_S8_lT3_lS8_S8_lS9_T4_lS8_S8_l
	.p2align	8
	.type	_ZN9rocsolver6v33100L16mfma_gemm_kernelI19rocblas_complex_numIfElS3_PS3_S4_PKS4_EEv18rocblas_operation_S7_T0_S8_S8_T1_T2_lS8_S8_lT3_lS8_S8_lS9_T4_lS8_S8_l,@function
_ZN9rocsolver6v33100L16mfma_gemm_kernelI19rocblas_complex_numIfElS3_PS3_S4_PKS4_EEv18rocblas_operation_S7_T0_S8_S8_T1_T2_lS8_S8_lT3_lS8_S8_lS9_T4_lS8_S8_l: ; @_ZN9rocsolver6v33100L16mfma_gemm_kernelI19rocblas_complex_numIfElS3_PS3_S4_PKS4_EEv18rocblas_operation_S7_T0_S8_S8_T1_T2_lS8_S8_lT3_lS8_S8_lS9_T4_lS8_S8_l
; %bb.0:
	s_endpgm
	.section	.rodata,"a",@progbits
	.p2align	6, 0x0
	.amdhsa_kernel _ZN9rocsolver6v33100L16mfma_gemm_kernelI19rocblas_complex_numIfElS3_PS3_S4_PKS4_EEv18rocblas_operation_S7_T0_S8_S8_T1_T2_lS8_S8_lT3_lS8_S8_lS9_T4_lS8_S8_l
		.amdhsa_group_segment_fixed_size 0
		.amdhsa_private_segment_fixed_size 0
		.amdhsa_kernarg_size 168
		.amdhsa_user_sgpr_count 2
		.amdhsa_user_sgpr_dispatch_ptr 0
		.amdhsa_user_sgpr_queue_ptr 0
		.amdhsa_user_sgpr_kernarg_segment_ptr 1
		.amdhsa_user_sgpr_dispatch_id 0
		.amdhsa_user_sgpr_kernarg_preload_length 0
		.amdhsa_user_sgpr_kernarg_preload_offset 0
		.amdhsa_user_sgpr_private_segment_size 0
		.amdhsa_wavefront_size32 1
		.amdhsa_uses_dynamic_stack 0
		.amdhsa_enable_private_segment 0
		.amdhsa_system_sgpr_workgroup_id_x 1
		.amdhsa_system_sgpr_workgroup_id_y 0
		.amdhsa_system_sgpr_workgroup_id_z 0
		.amdhsa_system_sgpr_workgroup_info 0
		.amdhsa_system_vgpr_workitem_id 0
		.amdhsa_next_free_vgpr 1
		.amdhsa_next_free_sgpr 1
		.amdhsa_named_barrier_count 0
		.amdhsa_reserve_vcc 0
		.amdhsa_float_round_mode_32 0
		.amdhsa_float_round_mode_16_64 0
		.amdhsa_float_denorm_mode_32 3
		.amdhsa_float_denorm_mode_16_64 3
		.amdhsa_fp16_overflow 0
		.amdhsa_memory_ordered 1
		.amdhsa_forward_progress 1
		.amdhsa_inst_pref_size 1
		.amdhsa_round_robin_scheduling 0
		.amdhsa_exception_fp_ieee_invalid_op 0
		.amdhsa_exception_fp_denorm_src 0
		.amdhsa_exception_fp_ieee_div_zero 0
		.amdhsa_exception_fp_ieee_overflow 0
		.amdhsa_exception_fp_ieee_underflow 0
		.amdhsa_exception_fp_ieee_inexact 0
		.amdhsa_exception_int_div_zero 0
	.end_amdhsa_kernel
	.section	.text._ZN9rocsolver6v33100L16mfma_gemm_kernelI19rocblas_complex_numIfElS3_PS3_S4_PKS4_EEv18rocblas_operation_S7_T0_S8_S8_T1_T2_lS8_S8_lT3_lS8_S8_lS9_T4_lS8_S8_l,"axG",@progbits,_ZN9rocsolver6v33100L16mfma_gemm_kernelI19rocblas_complex_numIfElS3_PS3_S4_PKS4_EEv18rocblas_operation_S7_T0_S8_S8_T1_T2_lS8_S8_lT3_lS8_S8_lS9_T4_lS8_S8_l,comdat
.Lfunc_end63:
	.size	_ZN9rocsolver6v33100L16mfma_gemm_kernelI19rocblas_complex_numIfElS3_PS3_S4_PKS4_EEv18rocblas_operation_S7_T0_S8_S8_T1_T2_lS8_S8_lT3_lS8_S8_lS9_T4_lS8_S8_l, .Lfunc_end63-_ZN9rocsolver6v33100L16mfma_gemm_kernelI19rocblas_complex_numIfElS3_PS3_S4_PKS4_EEv18rocblas_operation_S7_T0_S8_S8_T1_T2_lS8_S8_lT3_lS8_S8_lS9_T4_lS8_S8_l
                                        ; -- End function
	.set _ZN9rocsolver6v33100L16mfma_gemm_kernelI19rocblas_complex_numIfElS3_PS3_S4_PKS4_EEv18rocblas_operation_S7_T0_S8_S8_T1_T2_lS8_S8_lT3_lS8_S8_lS9_T4_lS8_S8_l.num_vgpr, 0
	.set _ZN9rocsolver6v33100L16mfma_gemm_kernelI19rocblas_complex_numIfElS3_PS3_S4_PKS4_EEv18rocblas_operation_S7_T0_S8_S8_T1_T2_lS8_S8_lT3_lS8_S8_lS9_T4_lS8_S8_l.num_agpr, 0
	.set _ZN9rocsolver6v33100L16mfma_gemm_kernelI19rocblas_complex_numIfElS3_PS3_S4_PKS4_EEv18rocblas_operation_S7_T0_S8_S8_T1_T2_lS8_S8_lT3_lS8_S8_lS9_T4_lS8_S8_l.numbered_sgpr, 0
	.set _ZN9rocsolver6v33100L16mfma_gemm_kernelI19rocblas_complex_numIfElS3_PS3_S4_PKS4_EEv18rocblas_operation_S7_T0_S8_S8_T1_T2_lS8_S8_lT3_lS8_S8_lS9_T4_lS8_S8_l.num_named_barrier, 0
	.set _ZN9rocsolver6v33100L16mfma_gemm_kernelI19rocblas_complex_numIfElS3_PS3_S4_PKS4_EEv18rocblas_operation_S7_T0_S8_S8_T1_T2_lS8_S8_lT3_lS8_S8_lS9_T4_lS8_S8_l.private_seg_size, 0
	.set _ZN9rocsolver6v33100L16mfma_gemm_kernelI19rocblas_complex_numIfElS3_PS3_S4_PKS4_EEv18rocblas_operation_S7_T0_S8_S8_T1_T2_lS8_S8_lT3_lS8_S8_lS9_T4_lS8_S8_l.uses_vcc, 0
	.set _ZN9rocsolver6v33100L16mfma_gemm_kernelI19rocblas_complex_numIfElS3_PS3_S4_PKS4_EEv18rocblas_operation_S7_T0_S8_S8_T1_T2_lS8_S8_lT3_lS8_S8_lS9_T4_lS8_S8_l.uses_flat_scratch, 0
	.set _ZN9rocsolver6v33100L16mfma_gemm_kernelI19rocblas_complex_numIfElS3_PS3_S4_PKS4_EEv18rocblas_operation_S7_T0_S8_S8_T1_T2_lS8_S8_lT3_lS8_S8_lS9_T4_lS8_S8_l.has_dyn_sized_stack, 0
	.set _ZN9rocsolver6v33100L16mfma_gemm_kernelI19rocblas_complex_numIfElS3_PS3_S4_PKS4_EEv18rocblas_operation_S7_T0_S8_S8_T1_T2_lS8_S8_lT3_lS8_S8_lS9_T4_lS8_S8_l.has_recursion, 0
	.set _ZN9rocsolver6v33100L16mfma_gemm_kernelI19rocblas_complex_numIfElS3_PS3_S4_PKS4_EEv18rocblas_operation_S7_T0_S8_S8_T1_T2_lS8_S8_lT3_lS8_S8_lS9_T4_lS8_S8_l.has_indirect_call, 0
	.section	.AMDGPU.csdata,"",@progbits
; Kernel info:
; codeLenInByte = 4
; TotalNumSgprs: 0
; NumVgprs: 0
; ScratchSize: 0
; MemoryBound: 0
; FloatMode: 240
; IeeeMode: 1
; LDSByteSize: 0 bytes/workgroup (compile time only)
; SGPRBlocks: 0
; VGPRBlocks: 0
; NumSGPRsForWavesPerEU: 1
; NumVGPRsForWavesPerEU: 1
; NamedBarCnt: 0
; Occupancy: 16
; WaveLimiterHint : 0
; COMPUTE_PGM_RSRC2:SCRATCH_EN: 0
; COMPUTE_PGM_RSRC2:USER_SGPR: 2
; COMPUTE_PGM_RSRC2:TRAP_HANDLER: 0
; COMPUTE_PGM_RSRC2:TGID_X_EN: 1
; COMPUTE_PGM_RSRC2:TGID_Y_EN: 0
; COMPUTE_PGM_RSRC2:TGID_Z_EN: 0
; COMPUTE_PGM_RSRC2:TIDIG_COMP_CNT: 0
	.section	.text._ZN9rocsolver6v33100L11gemm_kernelI19rocblas_complex_numIfElPKS3_PS3_S6_PKS6_EEvT0_S9_S9_T1_bT2_lS9_S9_lbT3_lS9_S9_lSA_T4_lS9_S9_l,"axG",@progbits,_ZN9rocsolver6v33100L11gemm_kernelI19rocblas_complex_numIfElPKS3_PS3_S6_PKS6_EEvT0_S9_S9_T1_bT2_lS9_S9_lbT3_lS9_S9_lSA_T4_lS9_S9_l,comdat
	.globl	_ZN9rocsolver6v33100L11gemm_kernelI19rocblas_complex_numIfElPKS3_PS3_S6_PKS6_EEvT0_S9_S9_T1_bT2_lS9_S9_lbT3_lS9_S9_lSA_T4_lS9_S9_l ; -- Begin function _ZN9rocsolver6v33100L11gemm_kernelI19rocblas_complex_numIfElPKS3_PS3_S6_PKS6_EEvT0_S9_S9_T1_bT2_lS9_S9_lbT3_lS9_S9_lSA_T4_lS9_S9_l
	.p2align	8
	.type	_ZN9rocsolver6v33100L11gemm_kernelI19rocblas_complex_numIfElPKS3_PS3_S6_PKS6_EEvT0_S9_S9_T1_bT2_lS9_S9_lbT3_lS9_S9_lSA_T4_lS9_S9_l,@function
_ZN9rocsolver6v33100L11gemm_kernelI19rocblas_complex_numIfElPKS3_PS3_S6_PKS6_EEvT0_S9_S9_T1_bT2_lS9_S9_lbT3_lS9_S9_lSA_T4_lS9_S9_l: ; @_ZN9rocsolver6v33100L11gemm_kernelI19rocblas_complex_numIfElPKS3_PS3_S6_PKS6_EEvT0_S9_S9_T1_bT2_lS9_S9_lbT3_lS9_S9_lSA_T4_lS9_S9_l
; %bb.0:
	s_load_b32 s2, s[0:1], 0xbc
	s_bfe_u32 s4, ttmp6, 0x40010
	s_bfe_u32 s7, ttmp6, 0x4000c
	s_and_b32 s3, ttmp7, 0xffff
	s_add_co_i32 s4, s4, 1
	s_add_co_i32 s7, s7, 1
	s_bfe_u32 s5, ttmp6, 0x40004
	s_and_b32 s6, ttmp6, 15
	s_mul_i32 s4, s3, s4
	s_mul_i32 s7, ttmp9, s7
	s_getreg_b32 s24, hwreg(HW_REG_IB_STS2, 6, 4)
	v_mov_b32_e32 v5, 0
	v_and_b32_e32 v4, 0x3ff, v0
	s_add_co_i32 s5, s5, s4
	s_add_co_i32 s6, s6, s7
	s_load_b256 s[16:23], s[0:1], 0x0
	s_mov_b32 s37, 0
	s_wait_kmcnt 0x0
	s_lshr_b32 s4, s2, 16
	s_and_b32 s2, s2, 0xffff
	s_cmp_eq_u32 s24, 0
	s_cselect_b32 s6, ttmp9, s6
	s_delay_alu instid0(SALU_CYCLE_1)
	v_mad_nc_u64_u32 v[2:3], s2, s6, v[4:5]
	v_bfe_u32 v4, v0, 10, 10
	s_cselect_b32 s2, s3, s5
	s_delay_alu instid0(VALU_DEP_1) | instid1(SALU_CYCLE_1)
	v_mad_nc_u64_u32 v[0:1], s4, s2, v[4:5]
	s_delay_alu instid0(VALU_DEP_3) | instskip(NEXT) | instid1(VALU_DEP_2)
	v_cmp_gt_i64_e32 vcc_lo, s[16:17], v[2:3]
	v_cmp_gt_i64_e64 s2, s[18:19], v[0:1]
	s_and_b32 s2, vcc_lo, s2
	s_delay_alu instid0(SALU_CYCLE_1)
	s_and_saveexec_b32 s3, s2
	s_cbranch_execz .LBB64_9
; %bb.1:
	s_load_b512 s[4:19], s[0:1], 0x58
	s_load_b64 s[34:35], s[22:23], 0x0
	s_wait_xcnt 0x0
	v_cmp_lt_i64_e64 s22, s[20:21], 1
	s_bfe_u32 s23, ttmp6, 0x40008
	v_mov_b32_e32 v4, 0
	s_wait_kmcnt 0x0
	s_load_b64 s[2:3], s[14:15], 0x0
	s_wait_xcnt 0x0
	s_bfe_u32 s14, ttmp6, 0x40014
	s_lshr_b32 s15, ttmp7, 16
	s_add_co_i32 s14, s14, 1
	s_delay_alu instid0(SALU_CYCLE_1) | instskip(NEXT) | instid1(SALU_CYCLE_1)
	s_mul_i32 s14, s15, s14
	s_add_co_i32 s23, s23, s14
	s_cmp_eq_u32 s24, 0
	s_cselect_b32 s36, s15, s23
	s_and_b32 vcc_lo, exec_lo, s22
	s_cbranch_vccnz .LBB64_8
; %bb.2:
	s_clause 0x1
	s_load_b256 s[24:31], s[0:1], 0x28
	s_load_b32 s14, s[0:1], 0x20
	v_mul_u64_e32 v[4:5], s[10:11], v[0:1]
	s_load_b96 s[40:42], s[0:1], 0x48
	s_mul_u64 s[12:13], s[12:13], s[36:37]
	s_wait_kmcnt 0x0
	v_mul_u64_e32 v[6:7], s[28:29], v[2:3]
	s_bitcmp1_b32 s14, 0
	s_mul_u64 s[14:15], s[40:41], s[36:37]
	s_cselect_b32 s10, -1, 0
	s_delay_alu instid0(SALU_CYCLE_1)
	s_xor_b32 s10, s10, -1
	s_bitcmp1_b32 s42, 0
	s_cselect_b32 s11, -1, 0
	s_lshl_b64 s[22:23], s[26:27], 3
	s_lshl_b64 s[6:7], s[6:7], 3
	;; [unrolled: 1-line block ×4, first 2 shown]
	s_add_nc_u64 s[22:23], s[24:25], s[22:23]
	s_add_nc_u64 s[4:5], s[4:5], s[6:7]
	;; [unrolled: 1-line block ×4, first 2 shown]
	s_delay_alu instid0(VALU_DEP_2) | instid1(SALU_CYCLE_1)
	v_lshl_add_u64 v[4:5], v[4:5], 3, s[4:5]
	s_lshl_b64 s[4:5], s[30:31], 3
	s_delay_alu instid0(VALU_DEP_1) | instskip(SKIP_1) | instid1(VALU_DEP_4)
	v_add_nc_u64_e32 v[8:9], 4, v[4:5]
	v_dual_mov_b32 v5, 0 :: v_dual_mov_b32 v4, 0
	v_lshl_add_u64 v[6:7], v[6:7], 3, s[6:7]
	s_lshl_b64 s[6:7], s[8:9], 3
	s_delay_alu instid0(VALU_DEP_1)
	v_add_nc_u64_e32 v[6:7], 4, v[6:7]
	s_branch .LBB64_4
.LBB64_3:                               ;   in Loop: Header=BB64_4 Depth=1
	global_load_b64 v[12:13], v[8:9], off offset:-4
	s_wait_xcnt 0x1
	v_add_nc_u64_e32 v[6:7], s[4:5], v[6:7]
	s_wait_xcnt 0x0
	v_add_nc_u64_e32 v[8:9], s[6:7], v[8:9]
	s_add_nc_u64 s[20:21], s[20:21], -1
	s_delay_alu instid0(SALU_CYCLE_1) | instskip(SKIP_2) | instid1(VALU_DEP_1)
	s_cmp_eq_u64 s[20:21], 0
	s_wait_loadcnt 0x0
	v_dual_cndmask_b32 v13, v13, -v13, s11 :: v_dual_mul_f32 v14, v11, v12
	v_dual_mul_f32 v11, v11, v13 :: v_dual_fmac_f32 v14, v13, v10
	s_delay_alu instid0(VALU_DEP_1) | instskip(NEXT) | instid1(VALU_DEP_2)
	v_fma_f32 v10, v12, v10, -v11
	v_add_f32_e32 v5, v5, v14
	s_delay_alu instid0(VALU_DEP_2)
	v_add_f32_e32 v4, v4, v10
	s_cbranch_scc1 .LBB64_8
.LBB64_4:                               ; =>This Inner Loop Header: Depth=1
	s_and_b32 vcc_lo, exec_lo, s10
	s_mov_b32 s8, -1
                                        ; implicit-def: $vgpr11
	s_cbranch_vccz .LBB64_6
; %bb.5:                                ;   in Loop: Header=BB64_4 Depth=1
	global_load_b64 v[10:11], v[6:7], off offset:-4
	s_mov_b32 s8, 0
.LBB64_6:                               ;   in Loop: Header=BB64_4 Depth=1
	s_delay_alu instid0(SALU_CYCLE_1)
	s_and_not1_b32 vcc_lo, exec_lo, s8
	s_cbranch_vccnz .LBB64_3
; %bb.7:                                ;   in Loop: Header=BB64_4 Depth=1
	s_wait_loadcnt 0x0
	global_load_b64 v[10:11], v[6:7], off offset:-4
	s_wait_loadcnt 0x0
	v_xor_b32_e32 v11, 0x80000000, v11
	s_branch .LBB64_3
.LBB64_8:
	s_load_b64 s[4:5], s[16:17], s36 offset:0x0 scale_offset
	s_load_b128 s[8:11], s[0:1], 0x98
	s_wait_xcnt 0x0
	s_lshl_b64 s[0:1], s[18:19], 3
	v_mov_b64_e32 v[8:9], s[34:35]
	s_wait_kmcnt 0x0
	v_mov_b64_e32 v[10:11], s[2:3]
	v_mov_b32_e32 v6, v5
	s_delay_alu instid0(VALU_DEP_1) | instskip(NEXT) | instid1(VALU_DEP_1)
	v_pk_mul_f32 v[6:7], v[8:9], v[6:7] op_sel:[1,0] op_sel_hi:[0,0]
	v_pk_fma_f32 v[14:15], v[8:9], v[4:5], v[6:7] op_sel_hi:[1,0,1]
	v_pk_fma_f32 v[4:5], v[8:9], v[4:5], v[6:7] neg_lo:[0,0,1] neg_hi:[0,0,1]
	s_delay_alu instid0(VALU_DEP_2)
	v_mov_b32_e32 v5, v15
	v_mul_u64_e32 v[2:3], s[8:9], v[2:3]
	v_mul_u64_e32 v[0:1], s[10:11], v[0:1]
	s_add_nc_u64 s[0:1], s[4:5], s[0:1]
	s_delay_alu instid0(VALU_DEP_2) | instid1(SALU_CYCLE_1)
	v_lshl_add_u64 v[2:3], v[2:3], 3, s[0:1]
	s_delay_alu instid0(VALU_DEP_1) | instskip(SKIP_3) | instid1(VALU_DEP_1)
	v_lshl_add_u64 v[0:1], v[0:1], 3, v[2:3]
	flat_load_b64 v[2:3], v[0:1]
	s_wait_loadcnt_dscnt 0x0
	v_pk_mul_f32 v[12:13], v[10:11], v[2:3] op_sel:[1,1] op_sel_hi:[0,1]
	v_pk_fma_f32 v[16:17], v[10:11], v[2:3], v[12:13] op_sel_hi:[1,0,1]
	v_pk_fma_f32 v[2:3], v[10:11], v[2:3], v[12:13] neg_lo:[0,0,1] neg_hi:[0,0,1]
	s_delay_alu instid0(VALU_DEP_2) | instskip(NEXT) | instid1(VALU_DEP_1)
	v_mov_b32_e32 v3, v17
	v_pk_add_f32 v[2:3], v[4:5], v[2:3]
	flat_store_b64 v[0:1], v[2:3]
.LBB64_9:
	s_endpgm
	.section	.rodata,"a",@progbits
	.p2align	6, 0x0
	.amdhsa_kernel _ZN9rocsolver6v33100L11gemm_kernelI19rocblas_complex_numIfElPKS3_PS3_S6_PKS6_EEvT0_S9_S9_T1_bT2_lS9_S9_lbT3_lS9_S9_lSA_T4_lS9_S9_l
		.amdhsa_group_segment_fixed_size 0
		.amdhsa_private_segment_fixed_size 0
		.amdhsa_kernarg_size 432
		.amdhsa_user_sgpr_count 2
		.amdhsa_user_sgpr_dispatch_ptr 0
		.amdhsa_user_sgpr_queue_ptr 0
		.amdhsa_user_sgpr_kernarg_segment_ptr 1
		.amdhsa_user_sgpr_dispatch_id 0
		.amdhsa_user_sgpr_kernarg_preload_length 0
		.amdhsa_user_sgpr_kernarg_preload_offset 0
		.amdhsa_user_sgpr_private_segment_size 0
		.amdhsa_wavefront_size32 1
		.amdhsa_uses_dynamic_stack 0
		.amdhsa_enable_private_segment 0
		.amdhsa_system_sgpr_workgroup_id_x 1
		.amdhsa_system_sgpr_workgroup_id_y 1
		.amdhsa_system_sgpr_workgroup_id_z 1
		.amdhsa_system_sgpr_workgroup_info 0
		.amdhsa_system_vgpr_workitem_id 1
		.amdhsa_next_free_vgpr 18
		.amdhsa_next_free_sgpr 43
		.amdhsa_named_barrier_count 0
		.amdhsa_reserve_vcc 1
		.amdhsa_float_round_mode_32 0
		.amdhsa_float_round_mode_16_64 0
		.amdhsa_float_denorm_mode_32 3
		.amdhsa_float_denorm_mode_16_64 3
		.amdhsa_fp16_overflow 0
		.amdhsa_memory_ordered 1
		.amdhsa_forward_progress 1
		.amdhsa_inst_pref_size 7
		.amdhsa_round_robin_scheduling 0
		.amdhsa_exception_fp_ieee_invalid_op 0
		.amdhsa_exception_fp_denorm_src 0
		.amdhsa_exception_fp_ieee_div_zero 0
		.amdhsa_exception_fp_ieee_overflow 0
		.amdhsa_exception_fp_ieee_underflow 0
		.amdhsa_exception_fp_ieee_inexact 0
		.amdhsa_exception_int_div_zero 0
	.end_amdhsa_kernel
	.section	.text._ZN9rocsolver6v33100L11gemm_kernelI19rocblas_complex_numIfElPKS3_PS3_S6_PKS6_EEvT0_S9_S9_T1_bT2_lS9_S9_lbT3_lS9_S9_lSA_T4_lS9_S9_l,"axG",@progbits,_ZN9rocsolver6v33100L11gemm_kernelI19rocblas_complex_numIfElPKS3_PS3_S6_PKS6_EEvT0_S9_S9_T1_bT2_lS9_S9_lbT3_lS9_S9_lSA_T4_lS9_S9_l,comdat
.Lfunc_end64:
	.size	_ZN9rocsolver6v33100L11gemm_kernelI19rocblas_complex_numIfElPKS3_PS3_S6_PKS6_EEvT0_S9_S9_T1_bT2_lS9_S9_lbT3_lS9_S9_lSA_T4_lS9_S9_l, .Lfunc_end64-_ZN9rocsolver6v33100L11gemm_kernelI19rocblas_complex_numIfElPKS3_PS3_S6_PKS6_EEvT0_S9_S9_T1_bT2_lS9_S9_lbT3_lS9_S9_lSA_T4_lS9_S9_l
                                        ; -- End function
	.set _ZN9rocsolver6v33100L11gemm_kernelI19rocblas_complex_numIfElPKS3_PS3_S6_PKS6_EEvT0_S9_S9_T1_bT2_lS9_S9_lbT3_lS9_S9_lSA_T4_lS9_S9_l.num_vgpr, 18
	.set _ZN9rocsolver6v33100L11gemm_kernelI19rocblas_complex_numIfElPKS3_PS3_S6_PKS6_EEvT0_S9_S9_T1_bT2_lS9_S9_lbT3_lS9_S9_lSA_T4_lS9_S9_l.num_agpr, 0
	.set _ZN9rocsolver6v33100L11gemm_kernelI19rocblas_complex_numIfElPKS3_PS3_S6_PKS6_EEvT0_S9_S9_T1_bT2_lS9_S9_lbT3_lS9_S9_lSA_T4_lS9_S9_l.numbered_sgpr, 43
	.set _ZN9rocsolver6v33100L11gemm_kernelI19rocblas_complex_numIfElPKS3_PS3_S6_PKS6_EEvT0_S9_S9_T1_bT2_lS9_S9_lbT3_lS9_S9_lSA_T4_lS9_S9_l.num_named_barrier, 0
	.set _ZN9rocsolver6v33100L11gemm_kernelI19rocblas_complex_numIfElPKS3_PS3_S6_PKS6_EEvT0_S9_S9_T1_bT2_lS9_S9_lbT3_lS9_S9_lSA_T4_lS9_S9_l.private_seg_size, 0
	.set _ZN9rocsolver6v33100L11gemm_kernelI19rocblas_complex_numIfElPKS3_PS3_S6_PKS6_EEvT0_S9_S9_T1_bT2_lS9_S9_lbT3_lS9_S9_lSA_T4_lS9_S9_l.uses_vcc, 1
	.set _ZN9rocsolver6v33100L11gemm_kernelI19rocblas_complex_numIfElPKS3_PS3_S6_PKS6_EEvT0_S9_S9_T1_bT2_lS9_S9_lbT3_lS9_S9_lSA_T4_lS9_S9_l.uses_flat_scratch, 0
	.set _ZN9rocsolver6v33100L11gemm_kernelI19rocblas_complex_numIfElPKS3_PS3_S6_PKS6_EEvT0_S9_S9_T1_bT2_lS9_S9_lbT3_lS9_S9_lSA_T4_lS9_S9_l.has_dyn_sized_stack, 0
	.set _ZN9rocsolver6v33100L11gemm_kernelI19rocblas_complex_numIfElPKS3_PS3_S6_PKS6_EEvT0_S9_S9_T1_bT2_lS9_S9_lbT3_lS9_S9_lSA_T4_lS9_S9_l.has_recursion, 0
	.set _ZN9rocsolver6v33100L11gemm_kernelI19rocblas_complex_numIfElPKS3_PS3_S6_PKS6_EEvT0_S9_S9_T1_bT2_lS9_S9_lbT3_lS9_S9_lSA_T4_lS9_S9_l.has_indirect_call, 0
	.section	.AMDGPU.csdata,"",@progbits
; Kernel info:
; codeLenInByte = 796
; TotalNumSgprs: 45
; NumVgprs: 18
; ScratchSize: 0
; MemoryBound: 0
; FloatMode: 240
; IeeeMode: 1
; LDSByteSize: 0 bytes/workgroup (compile time only)
; SGPRBlocks: 0
; VGPRBlocks: 1
; NumSGPRsForWavesPerEU: 45
; NumVGPRsForWavesPerEU: 18
; NamedBarCnt: 0
; Occupancy: 16
; WaveLimiterHint : 1
; COMPUTE_PGM_RSRC2:SCRATCH_EN: 0
; COMPUTE_PGM_RSRC2:USER_SGPR: 2
; COMPUTE_PGM_RSRC2:TRAP_HANDLER: 0
; COMPUTE_PGM_RSRC2:TGID_X_EN: 1
; COMPUTE_PGM_RSRC2:TGID_Y_EN: 1
; COMPUTE_PGM_RSRC2:TGID_Z_EN: 1
; COMPUTE_PGM_RSRC2:TIDIG_COMP_CNT: 1
	.section	.text._ZN9rocsolver6v33100L11gemm_kernelI19rocblas_complex_numIfElS3_PS3_S4_PKS4_EEvT0_S7_S7_T1_bT2_lS7_S7_lbT3_lS7_S7_lS8_T4_lS7_S7_l,"axG",@progbits,_ZN9rocsolver6v33100L11gemm_kernelI19rocblas_complex_numIfElS3_PS3_S4_PKS4_EEvT0_S7_S7_T1_bT2_lS7_S7_lbT3_lS7_S7_lS8_T4_lS7_S7_l,comdat
	.globl	_ZN9rocsolver6v33100L11gemm_kernelI19rocblas_complex_numIfElS3_PS3_S4_PKS4_EEvT0_S7_S7_T1_bT2_lS7_S7_lbT3_lS7_S7_lS8_T4_lS7_S7_l ; -- Begin function _ZN9rocsolver6v33100L11gemm_kernelI19rocblas_complex_numIfElS3_PS3_S4_PKS4_EEvT0_S7_S7_T1_bT2_lS7_S7_lbT3_lS7_S7_lS8_T4_lS7_S7_l
	.p2align	8
	.type	_ZN9rocsolver6v33100L11gemm_kernelI19rocblas_complex_numIfElS3_PS3_S4_PKS4_EEvT0_S7_S7_T1_bT2_lS7_S7_lbT3_lS7_S7_lS8_T4_lS7_S7_l,@function
_ZN9rocsolver6v33100L11gemm_kernelI19rocblas_complex_numIfElS3_PS3_S4_PKS4_EEvT0_S7_S7_T1_bT2_lS7_S7_lbT3_lS7_S7_lS8_T4_lS7_S7_l: ; @_ZN9rocsolver6v33100L11gemm_kernelI19rocblas_complex_numIfElS3_PS3_S4_PKS4_EEvT0_S7_S7_T1_bT2_lS7_S7_lbT3_lS7_S7_lS8_T4_lS7_S7_l
; %bb.0:
	s_clause 0x1
	s_load_b32 s2, s[0:1], 0xbc
	s_load_b128 s[4:7], s[0:1], 0x0
	s_bfe_u32 s8, ttmp6, 0x40010
	s_bfe_u32 s11, ttmp6, 0x4000c
	s_and_b32 s3, ttmp7, 0xffff
	s_add_co_i32 s8, s8, 1
	s_add_co_i32 s11, s11, 1
	s_bfe_u32 s9, ttmp6, 0x40004
	s_and_b32 s10, ttmp6, 15
	s_mul_i32 s8, s3, s8
	s_mul_i32 s11, ttmp9, s11
	s_getreg_b32 s12, hwreg(HW_REG_IB_STS2, 6, 4)
	v_mov_b32_e32 v5, 0
	v_and_b32_e32 v4, 0x3ff, v0
	s_add_co_i32 s9, s9, s8
	s_add_co_i32 s10, s10, s11
	s_mov_b32 s35, 0
	s_wait_kmcnt 0x0
	s_lshr_b32 s8, s2, 16
	s_and_b32 s2, s2, 0xffff
	s_cmp_eq_u32 s12, 0
	s_cselect_b32 s10, ttmp9, s10
	s_delay_alu instid0(SALU_CYCLE_1)
	v_mad_nc_u64_u32 v[2:3], s2, s10, v[4:5]
	v_bfe_u32 v4, v0, 10, 10
	s_cselect_b32 s2, s3, s9
	s_delay_alu instid0(VALU_DEP_1) | instid1(SALU_CYCLE_1)
	v_mad_nc_u64_u32 v[0:1], s8, s2, v[4:5]
	s_delay_alu instid0(VALU_DEP_3) | instskip(NEXT) | instid1(VALU_DEP_2)
	v_cmp_gt_i64_e32 vcc_lo, s[4:5], v[2:3]
	v_cmp_gt_i64_e64 s2, s[6:7], v[0:1]
	s_and_b32 s2, vcc_lo, s2
	s_delay_alu instid0(SALU_CYCLE_1)
	s_and_saveexec_b32 s3, s2
	s_cbranch_execz .LBB65_9
; %bb.1:
	s_clause 0x3
	s_load_b64 s[36:37], s[0:1], 0x10
	s_load_b96 s[28:30], s[0:1], 0x18
	s_load_b256 s[4:11], s[0:1], 0x88
	s_load_b64 s[2:3], s[0:1], 0x80
	s_bfe_u32 s14, ttmp6, 0x40014
	s_lshr_b32 s13, ttmp7, 16
	s_add_co_i32 s14, s14, 1
	s_bfe_u32 s15, ttmp6, 0x40008
	s_mul_i32 s14, s13, s14
	v_mov_b32_e32 v4, 0
	s_add_co_i32 s15, s15, s14
	s_cmp_eq_u32 s12, 0
	s_cselect_b32 s34, s13, s15
	s_wait_kmcnt 0x0
	v_cmp_lt_i64_e64 s16, s[36:37], 1
	s_and_b32 vcc_lo, exec_lo, s16
	s_cbranch_vccnz .LBB65_8
; %bb.2:
	s_clause 0x2
	s_load_b256 s[12:19], s[0:1], 0x28
	s_load_b256 s[20:27], s[0:1], 0x58
	s_load_b96 s[40:42], s[0:1], 0x48
	s_bitcmp1_b32 s30, 0
	s_wait_xcnt 0x0
	s_load_b64 s[0:1], s[0:1], 0x78
	s_wait_kmcnt 0x0
	v_mul_u64_e32 v[4:5], s[16:17], v[2:3]
	v_mul_u64_e32 v[6:7], s[26:27], v[0:1]
	s_cselect_b32 s16, -1, 0
	s_mul_u64 s[26:27], s[40:41], s[34:35]
	s_xor_b32 s16, s16, -1
	s_bitcmp1_b32 s42, 0
	s_mul_u64 s[0:1], s[0:1], s[34:35]
	s_cselect_b32 s17, -1, 0
	s_lshl_b64 s[14:15], s[14:15], 3
	s_lshl_b64 s[22:23], s[22:23], 3
	;; [unrolled: 1-line block ×4, first 2 shown]
	s_add_nc_u64 s[12:13], s[12:13], s[14:15]
	s_add_nc_u64 s[14:15], s[20:21], s[22:23]
	;; [unrolled: 1-line block ×4, first 2 shown]
	s_delay_alu instid0(VALU_DEP_2) | instskip(NEXT) | instid1(VALU_DEP_2)
	v_lshl_add_u64 v[4:5], v[4:5], 3, s[12:13]
	v_lshl_add_u64 v[8:9], v[6:7], 3, s[0:1]
	s_lshl_b64 s[0:1], s[18:19], 3
	s_lshl_b64 s[12:13], s[24:25], 3
	s_delay_alu instid0(VALU_DEP_2) | instskip(NEXT) | instid1(VALU_DEP_2)
	v_add_nc_u64_e32 v[6:7], 4, v[4:5]
	v_add_nc_u64_e32 v[8:9], 4, v[8:9]
	v_dual_mov_b32 v5, 0 :: v_dual_mov_b32 v4, 0
	s_branch .LBB65_4
.LBB65_3:                               ;   in Loop: Header=BB65_4 Depth=1
	global_load_b64 v[12:13], v[8:9], off offset:-4
	s_wait_xcnt 0x1
	v_add_nc_u64_e32 v[6:7], s[0:1], v[6:7]
	s_wait_xcnt 0x0
	v_add_nc_u64_e32 v[8:9], s[12:13], v[8:9]
	s_add_nc_u64 s[36:37], s[36:37], -1
	s_delay_alu instid0(SALU_CYCLE_1) | instskip(SKIP_2) | instid1(VALU_DEP_1)
	s_cmp_eq_u64 s[36:37], 0
	s_wait_loadcnt 0x0
	v_dual_cndmask_b32 v13, v13, -v13, s17 :: v_dual_mul_f32 v14, v11, v12
	v_dual_mul_f32 v11, v11, v13 :: v_dual_fmac_f32 v14, v13, v10
	s_delay_alu instid0(VALU_DEP_1) | instskip(NEXT) | instid1(VALU_DEP_2)
	v_fma_f32 v10, v12, v10, -v11
	v_add_f32_e32 v5, v5, v14
	s_delay_alu instid0(VALU_DEP_2)
	v_add_f32_e32 v4, v4, v10
	s_cbranch_scc1 .LBB65_8
.LBB65_4:                               ; =>This Inner Loop Header: Depth=1
	s_and_b32 vcc_lo, exec_lo, s16
	s_mov_b32 s14, -1
                                        ; implicit-def: $vgpr11
	s_cbranch_vccz .LBB65_6
; %bb.5:                                ;   in Loop: Header=BB65_4 Depth=1
	global_load_b64 v[10:11], v[6:7], off offset:-4
	s_mov_b32 s14, 0
.LBB65_6:                               ;   in Loop: Header=BB65_4 Depth=1
	s_delay_alu instid0(SALU_CYCLE_1)
	s_and_not1_b32 vcc_lo, exec_lo, s14
	s_cbranch_vccnz .LBB65_3
; %bb.7:                                ;   in Loop: Header=BB65_4 Depth=1
	s_wait_loadcnt 0x0
	global_load_b64 v[10:11], v[6:7], off offset:-4
	s_wait_loadcnt 0x0
	v_xor_b32_e32 v11, 0x80000000, v11
	s_branch .LBB65_3
.LBB65_8:
	v_mul_u64_e32 v[2:3], s[8:9], v[2:3]
	v_mul_u64_e32 v[0:1], s[10:11], v[0:1]
	s_load_b64 s[0:1], s[4:5], s34 offset:0x0 scale_offset
	s_wait_xcnt 0x0
	s_lshl_b64 s[4:5], s[6:7], 3
	v_mov_b64_e32 v[8:9], s[28:29]
	v_mov_b64_e32 v[10:11], s[2:3]
	v_mov_b32_e32 v6, v5
	s_delay_alu instid0(VALU_DEP_1) | instskip(NEXT) | instid1(VALU_DEP_1)
	v_pk_mul_f32 v[6:7], v[8:9], v[6:7] op_sel:[1,0] op_sel_hi:[0,0]
	v_pk_fma_f32 v[14:15], v[8:9], v[4:5], v[6:7] op_sel_hi:[1,0,1]
	v_pk_fma_f32 v[4:5], v[8:9], v[4:5], v[6:7] neg_lo:[0,0,1] neg_hi:[0,0,1]
	s_delay_alu instid0(VALU_DEP_2) | instskip(SKIP_2) | instid1(SALU_CYCLE_1)
	v_mov_b32_e32 v5, v15
	s_wait_kmcnt 0x0
	s_add_nc_u64 s[0:1], s[0:1], s[4:5]
	v_lshl_add_u64 v[2:3], v[2:3], 3, s[0:1]
	s_delay_alu instid0(VALU_DEP_1) | instskip(SKIP_3) | instid1(VALU_DEP_1)
	v_lshl_add_u64 v[0:1], v[0:1], 3, v[2:3]
	flat_load_b64 v[2:3], v[0:1]
	s_wait_loadcnt_dscnt 0x0
	v_pk_mul_f32 v[12:13], v[10:11], v[2:3] op_sel:[1,1] op_sel_hi:[0,1]
	v_pk_fma_f32 v[16:17], v[10:11], v[2:3], v[12:13] op_sel_hi:[1,0,1]
	v_pk_fma_f32 v[2:3], v[10:11], v[2:3], v[12:13] neg_lo:[0,0,1] neg_hi:[0,0,1]
	s_delay_alu instid0(VALU_DEP_2) | instskip(NEXT) | instid1(VALU_DEP_1)
	v_mov_b32_e32 v3, v17
	v_pk_add_f32 v[2:3], v[4:5], v[2:3]
	flat_store_b64 v[0:1], v[2:3]
.LBB65_9:
	s_endpgm
	.section	.rodata,"a",@progbits
	.p2align	6, 0x0
	.amdhsa_kernel _ZN9rocsolver6v33100L11gemm_kernelI19rocblas_complex_numIfElS3_PS3_S4_PKS4_EEvT0_S7_S7_T1_bT2_lS7_S7_lbT3_lS7_S7_lS8_T4_lS7_S7_l
		.amdhsa_group_segment_fixed_size 0
		.amdhsa_private_segment_fixed_size 0
		.amdhsa_kernarg_size 432
		.amdhsa_user_sgpr_count 2
		.amdhsa_user_sgpr_dispatch_ptr 0
		.amdhsa_user_sgpr_queue_ptr 0
		.amdhsa_user_sgpr_kernarg_segment_ptr 1
		.amdhsa_user_sgpr_dispatch_id 0
		.amdhsa_user_sgpr_kernarg_preload_length 0
		.amdhsa_user_sgpr_kernarg_preload_offset 0
		.amdhsa_user_sgpr_private_segment_size 0
		.amdhsa_wavefront_size32 1
		.amdhsa_uses_dynamic_stack 0
		.amdhsa_enable_private_segment 0
		.amdhsa_system_sgpr_workgroup_id_x 1
		.amdhsa_system_sgpr_workgroup_id_y 1
		.amdhsa_system_sgpr_workgroup_id_z 1
		.amdhsa_system_sgpr_workgroup_info 0
		.amdhsa_system_vgpr_workitem_id 1
		.amdhsa_next_free_vgpr 18
		.amdhsa_next_free_sgpr 43
		.amdhsa_named_barrier_count 0
		.amdhsa_reserve_vcc 1
		.amdhsa_float_round_mode_32 0
		.amdhsa_float_round_mode_16_64 0
		.amdhsa_float_denorm_mode_32 3
		.amdhsa_float_denorm_mode_16_64 3
		.amdhsa_fp16_overflow 0
		.amdhsa_memory_ordered 1
		.amdhsa_forward_progress 1
		.amdhsa_inst_pref_size 7
		.amdhsa_round_robin_scheduling 0
		.amdhsa_exception_fp_ieee_invalid_op 0
		.amdhsa_exception_fp_denorm_src 0
		.amdhsa_exception_fp_ieee_div_zero 0
		.amdhsa_exception_fp_ieee_overflow 0
		.amdhsa_exception_fp_ieee_underflow 0
		.amdhsa_exception_fp_ieee_inexact 0
		.amdhsa_exception_int_div_zero 0
	.end_amdhsa_kernel
	.section	.text._ZN9rocsolver6v33100L11gemm_kernelI19rocblas_complex_numIfElS3_PS3_S4_PKS4_EEvT0_S7_S7_T1_bT2_lS7_S7_lbT3_lS7_S7_lS8_T4_lS7_S7_l,"axG",@progbits,_ZN9rocsolver6v33100L11gemm_kernelI19rocblas_complex_numIfElS3_PS3_S4_PKS4_EEvT0_S7_S7_T1_bT2_lS7_S7_lbT3_lS7_S7_lS8_T4_lS7_S7_l,comdat
.Lfunc_end65:
	.size	_ZN9rocsolver6v33100L11gemm_kernelI19rocblas_complex_numIfElS3_PS3_S4_PKS4_EEvT0_S7_S7_T1_bT2_lS7_S7_lbT3_lS7_S7_lS8_T4_lS7_S7_l, .Lfunc_end65-_ZN9rocsolver6v33100L11gemm_kernelI19rocblas_complex_numIfElS3_PS3_S4_PKS4_EEvT0_S7_S7_T1_bT2_lS7_S7_lbT3_lS7_S7_lS8_T4_lS7_S7_l
                                        ; -- End function
	.set _ZN9rocsolver6v33100L11gemm_kernelI19rocblas_complex_numIfElS3_PS3_S4_PKS4_EEvT0_S7_S7_T1_bT2_lS7_S7_lbT3_lS7_S7_lS8_T4_lS7_S7_l.num_vgpr, 18
	.set _ZN9rocsolver6v33100L11gemm_kernelI19rocblas_complex_numIfElS3_PS3_S4_PKS4_EEvT0_S7_S7_T1_bT2_lS7_S7_lbT3_lS7_S7_lS8_T4_lS7_S7_l.num_agpr, 0
	.set _ZN9rocsolver6v33100L11gemm_kernelI19rocblas_complex_numIfElS3_PS3_S4_PKS4_EEvT0_S7_S7_T1_bT2_lS7_S7_lbT3_lS7_S7_lS8_T4_lS7_S7_l.numbered_sgpr, 43
	.set _ZN9rocsolver6v33100L11gemm_kernelI19rocblas_complex_numIfElS3_PS3_S4_PKS4_EEvT0_S7_S7_T1_bT2_lS7_S7_lbT3_lS7_S7_lS8_T4_lS7_S7_l.num_named_barrier, 0
	.set _ZN9rocsolver6v33100L11gemm_kernelI19rocblas_complex_numIfElS3_PS3_S4_PKS4_EEvT0_S7_S7_T1_bT2_lS7_S7_lbT3_lS7_S7_lS8_T4_lS7_S7_l.private_seg_size, 0
	.set _ZN9rocsolver6v33100L11gemm_kernelI19rocblas_complex_numIfElS3_PS3_S4_PKS4_EEvT0_S7_S7_T1_bT2_lS7_S7_lbT3_lS7_S7_lS8_T4_lS7_S7_l.uses_vcc, 1
	.set _ZN9rocsolver6v33100L11gemm_kernelI19rocblas_complex_numIfElS3_PS3_S4_PKS4_EEvT0_S7_S7_T1_bT2_lS7_S7_lbT3_lS7_S7_lS8_T4_lS7_S7_l.uses_flat_scratch, 0
	.set _ZN9rocsolver6v33100L11gemm_kernelI19rocblas_complex_numIfElS3_PS3_S4_PKS4_EEvT0_S7_S7_T1_bT2_lS7_S7_lbT3_lS7_S7_lS8_T4_lS7_S7_l.has_dyn_sized_stack, 0
	.set _ZN9rocsolver6v33100L11gemm_kernelI19rocblas_complex_numIfElS3_PS3_S4_PKS4_EEvT0_S7_S7_T1_bT2_lS7_S7_lbT3_lS7_S7_lS8_T4_lS7_S7_l.has_recursion, 0
	.set _ZN9rocsolver6v33100L11gemm_kernelI19rocblas_complex_numIfElS3_PS3_S4_PKS4_EEvT0_S7_S7_T1_bT2_lS7_S7_lbT3_lS7_S7_lS8_T4_lS7_S7_l.has_indirect_call, 0
	.section	.AMDGPU.csdata,"",@progbits
; Kernel info:
; codeLenInByte = 792
; TotalNumSgprs: 45
; NumVgprs: 18
; ScratchSize: 0
; MemoryBound: 0
; FloatMode: 240
; IeeeMode: 1
; LDSByteSize: 0 bytes/workgroup (compile time only)
; SGPRBlocks: 0
; VGPRBlocks: 1
; NumSGPRsForWavesPerEU: 45
; NumVGPRsForWavesPerEU: 18
; NamedBarCnt: 0
; Occupancy: 16
; WaveLimiterHint : 1
; COMPUTE_PGM_RSRC2:SCRATCH_EN: 0
; COMPUTE_PGM_RSRC2:USER_SGPR: 2
; COMPUTE_PGM_RSRC2:TRAP_HANDLER: 0
; COMPUTE_PGM_RSRC2:TGID_X_EN: 1
; COMPUTE_PGM_RSRC2:TGID_Y_EN: 1
; COMPUTE_PGM_RSRC2:TGID_Z_EN: 1
; COMPUTE_PGM_RSRC2:TIDIG_COMP_CNT: 1
	.section	.AMDGPU.gpr_maximums,"",@progbits
	.set amdgpu.max_num_vgpr, 0
	.set amdgpu.max_num_agpr, 0
	.set amdgpu.max_num_sgpr, 0
	.section	.AMDGPU.csdata,"",@progbits
	.type	__hip_cuid_4c8a7d4e0742cfe1,@object ; @__hip_cuid_4c8a7d4e0742cfe1
	.section	.bss,"aw",@nobits
	.globl	__hip_cuid_4c8a7d4e0742cfe1
__hip_cuid_4c8a7d4e0742cfe1:
	.byte	0                               ; 0x0
	.size	__hip_cuid_4c8a7d4e0742cfe1, 1

	.ident	"AMD clang version 22.0.0git (https://github.com/RadeonOpenCompute/llvm-project roc-7.2.4 26084 f58b06dce1f9c15707c5f808fd002e18c2accf7e)"
	.section	".note.GNU-stack","",@progbits
	.addrsig
	.addrsig_sym __hip_cuid_4c8a7d4e0742cfe1
	.amdgpu_metadata
---
amdhsa.kernels:
  - .args:
      - .offset:         0
        .size:           4
        .value_kind:     by_value
      - .offset:         4
        .size:           4
        .value_kind:     by_value
      - .offset:         8
        .size:           4
        .value_kind:     by_value
      - .offset:         12
        .size:           4
        .value_kind:     by_value
      - .offset:         16
        .size:           4
        .value_kind:     by_value
      - .address_space:  global
        .offset:         24
        .size:           8
        .value_kind:     global_buffer
      - .address_space:  global
        .offset:         32
        .size:           8
        .value_kind:     global_buffer
      - .offset:         40
        .size:           8
        .value_kind:     by_value
      - .offset:         48
        .size:           4
        .value_kind:     by_value
      - .offset:         52
        .size:           4
        .value_kind:     by_value
      - .offset:         56
        .size:           8
        .value_kind:     by_value
      - .address_space:  global
        .offset:         64
        .size:           8
        .value_kind:     global_buffer
      - .offset:         72
        .size:           8
        .value_kind:     by_value
      - .offset:         80
        .size:           4
        .value_kind:     by_value
      - .offset:         84
        .size:           4
        .value_kind:     by_value
      - .offset:         88
        .size:           8
        .value_kind:     by_value
      - .address_space:  global
        .offset:         96
        .size:           8
        .value_kind:     global_buffer
      - .address_space:  global
        .offset:         104
        .size:           8
        .value_kind:     global_buffer
      - .offset:         112
        .size:           8
        .value_kind:     by_value
      - .offset:         120
        .size:           4
        .value_kind:     by_value
      - .offset:         124
        .size:           4
        .value_kind:     by_value
      - .offset:         128
        .size:           8
        .value_kind:     by_value
    .group_segment_fixed_size: 0
    .kernarg_segment_align: 8
    .kernarg_segment_size: 136
    .language:       OpenCL C
    .language_version:
      - 2
      - 0
    .max_flat_workgroup_size: 1024
    .name:           _ZN9rocsolver6v33100L16mfma_gemm_kernelI19rocblas_complex_numIfEiPKS3_PS3_S6_S6_EEv18rocblas_operation_S7_T0_S8_S8_T1_T2_lS8_S8_lT3_lS8_S8_lS9_T4_lS8_S8_l
    .private_segment_fixed_size: 0
    .sgpr_count:     0
    .sgpr_spill_count: 0
    .symbol:         _ZN9rocsolver6v33100L16mfma_gemm_kernelI19rocblas_complex_numIfEiPKS3_PS3_S6_S6_EEv18rocblas_operation_S7_T0_S8_S8_T1_T2_lS8_S8_lT3_lS8_S8_lS9_T4_lS8_S8_l.kd
    .uniform_work_group_size: 1
    .uses_dynamic_stack: false
    .vgpr_count:     0
    .vgpr_spill_count: 0
    .wavefront_size: 32
  - .args:
      - .offset:         0
        .size:           4
        .value_kind:     by_value
      - .offset:         4
        .size:           4
        .value_kind:     by_value
      - .offset:         8
        .size:           4
        .value_kind:     by_value
      - .offset:         12
        .size:           4
        .value_kind:     by_value
      - .offset:         16
        .size:           4
        .value_kind:     by_value
      - .offset:         20
        .size:           8
        .value_kind:     by_value
      - .address_space:  global
        .offset:         32
        .size:           8
        .value_kind:     global_buffer
      - .offset:         40
        .size:           8
        .value_kind:     by_value
      - .offset:         48
        .size:           4
        .value_kind:     by_value
      - .offset:         52
        .size:           4
        .value_kind:     by_value
      - .offset:         56
        .size:           8
        .value_kind:     by_value
      - .address_space:  global
        .offset:         64
        .size:           8
        .value_kind:     global_buffer
      - .offset:         72
        .size:           8
        .value_kind:     by_value
      - .offset:         80
        .size:           4
        .value_kind:     by_value
      - .offset:         84
        .size:           4
        .value_kind:     by_value
      - .offset:         88
        .size:           8
        .value_kind:     by_value
      - .offset:         96
        .size:           8
        .value_kind:     by_value
      - .address_space:  global
        .offset:         104
        .size:           8
        .value_kind:     global_buffer
      - .offset:         112
        .size:           8
        .value_kind:     by_value
      - .offset:         120
        .size:           4
        .value_kind:     by_value
      - .offset:         124
        .size:           4
        .value_kind:     by_value
      - .offset:         128
        .size:           8
        .value_kind:     by_value
    .group_segment_fixed_size: 0
    .kernarg_segment_align: 8
    .kernarg_segment_size: 136
    .language:       OpenCL C
    .language_version:
      - 2
      - 0
    .max_flat_workgroup_size: 1024
    .name:           _ZN9rocsolver6v33100L16mfma_gemm_kernelI19rocblas_complex_numIfEiS3_PS3_S4_S4_EEv18rocblas_operation_S5_T0_S6_S6_T1_T2_lS6_S6_lT3_lS6_S6_lS7_T4_lS6_S6_l
    .private_segment_fixed_size: 0
    .sgpr_count:     0
    .sgpr_spill_count: 0
    .symbol:         _ZN9rocsolver6v33100L16mfma_gemm_kernelI19rocblas_complex_numIfEiS3_PS3_S4_S4_EEv18rocblas_operation_S5_T0_S6_S6_T1_T2_lS6_S6_lT3_lS6_S6_lS7_T4_lS6_S6_l.kd
    .uniform_work_group_size: 1
    .uses_dynamic_stack: false
    .vgpr_count:     0
    .vgpr_spill_count: 0
    .wavefront_size: 32
  - .args:
      - .offset:         0
        .size:           4
        .value_kind:     by_value
      - .offset:         4
        .size:           4
        .value_kind:     by_value
      - .offset:         8
        .size:           4
        .value_kind:     by_value
      - .address_space:  global
        .offset:         16
        .size:           8
        .value_kind:     global_buffer
      - .offset:         24
        .size:           1
        .value_kind:     by_value
      - .address_space:  global
        .offset:         32
        .size:           8
        .value_kind:     global_buffer
      - .offset:         40
        .size:           8
        .value_kind:     by_value
      - .offset:         48
        .size:           4
        .value_kind:     by_value
      - .offset:         52
        .size:           4
        .value_kind:     by_value
      - .offset:         56
        .size:           8
        .value_kind:     by_value
      - .offset:         64
        .size:           1
        .value_kind:     by_value
      - .address_space:  global
        .offset:         72
        .size:           8
        .value_kind:     global_buffer
      - .offset:         80
        .size:           8
        .value_kind:     by_value
      - .offset:         88
        .size:           4
        .value_kind:     by_value
      - .offset:         92
        .size:           4
        .value_kind:     by_value
      - .offset:         96
        .size:           8
        .value_kind:     by_value
      - .address_space:  global
        .offset:         104
        .size:           8
        .value_kind:     global_buffer
      - .address_space:  global
        .offset:         112
        .size:           8
        .value_kind:     global_buffer
      - .offset:         120
        .size:           8
        .value_kind:     by_value
      - .offset:         128
        .size:           4
        .value_kind:     by_value
      - .offset:         132
        .size:           4
        .value_kind:     by_value
      - .offset:         136
        .size:           8
        .value_kind:     by_value
      - .offset:         144
        .size:           4
        .value_kind:     hidden_block_count_x
      - .offset:         148
        .size:           4
        .value_kind:     hidden_block_count_y
      - .offset:         152
        .size:           4
        .value_kind:     hidden_block_count_z
      - .offset:         156
        .size:           2
        .value_kind:     hidden_group_size_x
      - .offset:         158
        .size:           2
        .value_kind:     hidden_group_size_y
      - .offset:         160
        .size:           2
        .value_kind:     hidden_group_size_z
      - .offset:         162
        .size:           2
        .value_kind:     hidden_remainder_x
      - .offset:         164
        .size:           2
        .value_kind:     hidden_remainder_y
      - .offset:         166
        .size:           2
        .value_kind:     hidden_remainder_z
      - .offset:         184
        .size:           8
        .value_kind:     hidden_global_offset_x
      - .offset:         192
        .size:           8
        .value_kind:     hidden_global_offset_y
      - .offset:         200
        .size:           8
        .value_kind:     hidden_global_offset_z
      - .offset:         208
        .size:           2
        .value_kind:     hidden_grid_dims
    .group_segment_fixed_size: 0
    .kernarg_segment_align: 8
    .kernarg_segment_size: 400
    .language:       OpenCL C
    .language_version:
      - 2
      - 0
    .max_flat_workgroup_size: 1024
    .name:           _ZN9rocsolver6v33100L11gemm_kernelI19rocblas_complex_numIfEiPKS3_PS3_S6_S6_EEvT0_S7_S7_T1_bT2_lS7_S7_lbT3_lS7_S7_lS8_T4_lS7_S7_l
    .private_segment_fixed_size: 0
    .sgpr_count:     34
    .sgpr_spill_count: 0
    .symbol:         _ZN9rocsolver6v33100L11gemm_kernelI19rocblas_complex_numIfEiPKS3_PS3_S6_S6_EEvT0_S7_S7_T1_bT2_lS7_S7_lbT3_lS7_S7_lS8_T4_lS7_S7_l.kd
    .uniform_work_group_size: 1
    .uses_dynamic_stack: false
    .vgpr_count:     17
    .vgpr_spill_count: 0
    .wavefront_size: 32
  - .args:
      - .offset:         0
        .size:           4
        .value_kind:     by_value
      - .offset:         4
        .size:           4
        .value_kind:     by_value
      - .offset:         8
        .size:           4
        .value_kind:     by_value
      - .offset:         12
        .size:           8
        .value_kind:     by_value
      - .offset:         20
        .size:           1
        .value_kind:     by_value
      - .address_space:  global
        .offset:         24
        .size:           8
        .value_kind:     global_buffer
      - .offset:         32
        .size:           8
        .value_kind:     by_value
      - .offset:         40
        .size:           4
        .value_kind:     by_value
      - .offset:         44
        .size:           4
        .value_kind:     by_value
      - .offset:         48
        .size:           8
        .value_kind:     by_value
      - .offset:         56
        .size:           1
        .value_kind:     by_value
      - .address_space:  global
        .offset:         64
        .size:           8
        .value_kind:     global_buffer
      - .offset:         72
        .size:           8
        .value_kind:     by_value
      - .offset:         80
        .size:           4
        .value_kind:     by_value
      - .offset:         84
        .size:           4
        .value_kind:     by_value
      - .offset:         88
        .size:           8
        .value_kind:     by_value
      - .offset:         96
        .size:           8
        .value_kind:     by_value
      - .address_space:  global
        .offset:         104
        .size:           8
        .value_kind:     global_buffer
      - .offset:         112
        .size:           8
        .value_kind:     by_value
      - .offset:         120
        .size:           4
        .value_kind:     by_value
      - .offset:         124
        .size:           4
        .value_kind:     by_value
      - .offset:         128
        .size:           8
        .value_kind:     by_value
      - .offset:         136
        .size:           4
        .value_kind:     hidden_block_count_x
      - .offset:         140
        .size:           4
        .value_kind:     hidden_block_count_y
      - .offset:         144
        .size:           4
        .value_kind:     hidden_block_count_z
      - .offset:         148
        .size:           2
        .value_kind:     hidden_group_size_x
      - .offset:         150
        .size:           2
        .value_kind:     hidden_group_size_y
      - .offset:         152
        .size:           2
        .value_kind:     hidden_group_size_z
      - .offset:         154
        .size:           2
        .value_kind:     hidden_remainder_x
      - .offset:         156
        .size:           2
        .value_kind:     hidden_remainder_y
      - .offset:         158
        .size:           2
        .value_kind:     hidden_remainder_z
      - .offset:         176
        .size:           8
        .value_kind:     hidden_global_offset_x
      - .offset:         184
        .size:           8
        .value_kind:     hidden_global_offset_y
      - .offset:         192
        .size:           8
        .value_kind:     hidden_global_offset_z
      - .offset:         200
        .size:           2
        .value_kind:     hidden_grid_dims
    .group_segment_fixed_size: 0
    .kernarg_segment_align: 8
    .kernarg_segment_size: 392
    .language:       OpenCL C
    .language_version:
      - 2
      - 0
    .max_flat_workgroup_size: 1024
    .name:           _ZN9rocsolver6v33100L11gemm_kernelI19rocblas_complex_numIfEiS3_PS3_S4_S4_EEvT0_S5_S5_T1_bT2_lS5_S5_lbT3_lS5_S5_lS6_T4_lS5_S5_l
    .private_segment_fixed_size: 0
    .sgpr_count:     29
    .sgpr_spill_count: 0
    .symbol:         _ZN9rocsolver6v33100L11gemm_kernelI19rocblas_complex_numIfEiS3_PS3_S4_S4_EEvT0_S5_S5_T1_bT2_lS5_S5_lbT3_lS5_S5_lS6_T4_lS5_S5_l.kd
    .uniform_work_group_size: 1
    .uses_dynamic_stack: false
    .vgpr_count:     17
    .vgpr_spill_count: 0
    .wavefront_size: 32
  - .args:
      - .offset:         0
        .size:           4
        .value_kind:     by_value
      - .offset:         4
        .size:           4
        .value_kind:     by_value
      - .offset:         8
        .size:           4
        .value_kind:     by_value
      - .offset:         12
        .size:           4
        .value_kind:     by_value
      - .offset:         16
        .size:           4
        .value_kind:     by_value
      - .address_space:  global
        .offset:         24
        .size:           8
        .value_kind:     global_buffer
      - .address_space:  global
        .offset:         32
        .size:           8
        .value_kind:     global_buffer
      - .offset:         40
        .size:           8
        .value_kind:     by_value
      - .offset:         48
        .size:           4
        .value_kind:     by_value
      - .offset:         52
        .size:           4
        .value_kind:     by_value
      - .offset:         56
        .size:           8
        .value_kind:     by_value
      - .address_space:  global
        .offset:         64
        .size:           8
        .value_kind:     global_buffer
      - .offset:         72
        .size:           8
        .value_kind:     by_value
      - .offset:         80
        .size:           4
        .value_kind:     by_value
      - .offset:         84
        .size:           4
        .value_kind:     by_value
      - .offset:         88
        .size:           8
        .value_kind:     by_value
      - .address_space:  global
        .offset:         96
        .size:           8
        .value_kind:     global_buffer
      - .address_space:  global
        .offset:         104
        .size:           8
        .value_kind:     global_buffer
      - .offset:         112
        .size:           8
        .value_kind:     by_value
      - .offset:         120
        .size:           4
        .value_kind:     by_value
      - .offset:         124
        .size:           4
        .value_kind:     by_value
      - .offset:         128
        .size:           8
        .value_kind:     by_value
    .group_segment_fixed_size: 0
    .kernarg_segment_align: 8
    .kernarg_segment_size: 136
    .language:       OpenCL C
    .language_version:
      - 2
      - 0
    .max_flat_workgroup_size: 1024
    .name:           _ZN9rocsolver6v33100L16mfma_gemm_kernelI19rocblas_complex_numIfEiPKS3_PKPS3_S8_S8_EEv18rocblas_operation_S9_T0_SA_SA_T1_T2_lSA_SA_lT3_lSA_SA_lSB_T4_lSA_SA_l
    .private_segment_fixed_size: 0
    .sgpr_count:     0
    .sgpr_spill_count: 0
    .symbol:         _ZN9rocsolver6v33100L16mfma_gemm_kernelI19rocblas_complex_numIfEiPKS3_PKPS3_S8_S8_EEv18rocblas_operation_S9_T0_SA_SA_T1_T2_lSA_SA_lT3_lSA_SA_lSB_T4_lSA_SA_l.kd
    .uniform_work_group_size: 1
    .uses_dynamic_stack: false
    .vgpr_count:     0
    .vgpr_spill_count: 0
    .wavefront_size: 32
  - .args:
      - .offset:         0
        .size:           4
        .value_kind:     by_value
      - .offset:         4
        .size:           4
        .value_kind:     by_value
      - .offset:         8
        .size:           4
        .value_kind:     by_value
      - .offset:         12
        .size:           4
        .value_kind:     by_value
      - .offset:         16
        .size:           4
        .value_kind:     by_value
      - .offset:         20
        .size:           8
        .value_kind:     by_value
      - .address_space:  global
        .offset:         32
        .size:           8
        .value_kind:     global_buffer
      - .offset:         40
        .size:           8
        .value_kind:     by_value
      - .offset:         48
        .size:           4
        .value_kind:     by_value
      - .offset:         52
        .size:           4
        .value_kind:     by_value
      - .offset:         56
        .size:           8
        .value_kind:     by_value
      - .address_space:  global
        .offset:         64
        .size:           8
        .value_kind:     global_buffer
      - .offset:         72
        .size:           8
        .value_kind:     by_value
      - .offset:         80
        .size:           4
        .value_kind:     by_value
      - .offset:         84
        .size:           4
        .value_kind:     by_value
      - .offset:         88
        .size:           8
        .value_kind:     by_value
      - .offset:         96
        .size:           8
        .value_kind:     by_value
      - .address_space:  global
        .offset:         104
        .size:           8
        .value_kind:     global_buffer
      - .offset:         112
        .size:           8
        .value_kind:     by_value
      - .offset:         120
        .size:           4
        .value_kind:     by_value
      - .offset:         124
        .size:           4
        .value_kind:     by_value
      - .offset:         128
        .size:           8
        .value_kind:     by_value
    .group_segment_fixed_size: 0
    .kernarg_segment_align: 8
    .kernarg_segment_size: 136
    .language:       OpenCL C
    .language_version:
      - 2
      - 0
    .max_flat_workgroup_size: 1024
    .name:           _ZN9rocsolver6v33100L16mfma_gemm_kernelI19rocblas_complex_numIfEiS3_PKPS3_S6_S6_EEv18rocblas_operation_S7_T0_S8_S8_T1_T2_lS8_S8_lT3_lS8_S8_lS9_T4_lS8_S8_l
    .private_segment_fixed_size: 0
    .sgpr_count:     0
    .sgpr_spill_count: 0
    .symbol:         _ZN9rocsolver6v33100L16mfma_gemm_kernelI19rocblas_complex_numIfEiS3_PKPS3_S6_S6_EEv18rocblas_operation_S7_T0_S8_S8_T1_T2_lS8_S8_lT3_lS8_S8_lS9_T4_lS8_S8_l.kd
    .uniform_work_group_size: 1
    .uses_dynamic_stack: false
    .vgpr_count:     0
    .vgpr_spill_count: 0
    .wavefront_size: 32
  - .args:
      - .offset:         0
        .size:           4
        .value_kind:     by_value
      - .offset:         4
        .size:           4
        .value_kind:     by_value
      - .offset:         8
        .size:           4
        .value_kind:     by_value
      - .address_space:  global
        .offset:         16
        .size:           8
        .value_kind:     global_buffer
      - .offset:         24
        .size:           1
        .value_kind:     by_value
      - .address_space:  global
        .offset:         32
        .size:           8
        .value_kind:     global_buffer
      - .offset:         40
        .size:           8
        .value_kind:     by_value
      - .offset:         48
        .size:           4
        .value_kind:     by_value
      - .offset:         52
        .size:           4
        .value_kind:     by_value
      - .offset:         56
        .size:           8
        .value_kind:     by_value
      - .offset:         64
        .size:           1
        .value_kind:     by_value
      - .address_space:  global
        .offset:         72
        .size:           8
        .value_kind:     global_buffer
      - .offset:         80
        .size:           8
        .value_kind:     by_value
      - .offset:         88
        .size:           4
        .value_kind:     by_value
      - .offset:         92
        .size:           4
        .value_kind:     by_value
      - .offset:         96
        .size:           8
        .value_kind:     by_value
      - .address_space:  global
        .offset:         104
        .size:           8
        .value_kind:     global_buffer
      - .address_space:  global
        .offset:         112
        .size:           8
        .value_kind:     global_buffer
      - .offset:         120
        .size:           8
        .value_kind:     by_value
      - .offset:         128
        .size:           4
        .value_kind:     by_value
      - .offset:         132
        .size:           4
        .value_kind:     by_value
      - .offset:         136
        .size:           8
        .value_kind:     by_value
      - .offset:         144
        .size:           4
        .value_kind:     hidden_block_count_x
      - .offset:         148
        .size:           4
        .value_kind:     hidden_block_count_y
      - .offset:         152
        .size:           4
        .value_kind:     hidden_block_count_z
      - .offset:         156
        .size:           2
        .value_kind:     hidden_group_size_x
      - .offset:         158
        .size:           2
        .value_kind:     hidden_group_size_y
      - .offset:         160
        .size:           2
        .value_kind:     hidden_group_size_z
      - .offset:         162
        .size:           2
        .value_kind:     hidden_remainder_x
      - .offset:         164
        .size:           2
        .value_kind:     hidden_remainder_y
      - .offset:         166
        .size:           2
        .value_kind:     hidden_remainder_z
      - .offset:         184
        .size:           8
        .value_kind:     hidden_global_offset_x
      - .offset:         192
        .size:           8
        .value_kind:     hidden_global_offset_y
      - .offset:         200
        .size:           8
        .value_kind:     hidden_global_offset_z
      - .offset:         208
        .size:           2
        .value_kind:     hidden_grid_dims
    .group_segment_fixed_size: 0
    .kernarg_segment_align: 8
    .kernarg_segment_size: 400
    .language:       OpenCL C
    .language_version:
      - 2
      - 0
    .max_flat_workgroup_size: 1024
    .name:           _ZN9rocsolver6v33100L11gemm_kernelI19rocblas_complex_numIfEiPKS3_PKPS3_S8_S8_EEvT0_S9_S9_T1_bT2_lS9_S9_lbT3_lS9_S9_lSA_T4_lS9_S9_l
    .private_segment_fixed_size: 0
    .sgpr_count:     32
    .sgpr_spill_count: 0
    .symbol:         _ZN9rocsolver6v33100L11gemm_kernelI19rocblas_complex_numIfEiPKS3_PKPS3_S8_S8_EEvT0_S9_S9_T1_bT2_lS9_S9_lbT3_lS9_S9_lSA_T4_lS9_S9_l.kd
    .uniform_work_group_size: 1
    .uses_dynamic_stack: false
    .vgpr_count:     17
    .vgpr_spill_count: 0
    .wavefront_size: 32
  - .args:
      - .offset:         0
        .size:           4
        .value_kind:     by_value
      - .offset:         4
        .size:           4
        .value_kind:     by_value
      - .offset:         8
        .size:           4
        .value_kind:     by_value
      - .offset:         12
        .size:           8
        .value_kind:     by_value
      - .offset:         20
        .size:           1
        .value_kind:     by_value
      - .address_space:  global
        .offset:         24
        .size:           8
        .value_kind:     global_buffer
      - .offset:         32
        .size:           8
        .value_kind:     by_value
      - .offset:         40
        .size:           4
        .value_kind:     by_value
      - .offset:         44
        .size:           4
        .value_kind:     by_value
      - .offset:         48
        .size:           8
        .value_kind:     by_value
      - .offset:         56
        .size:           1
        .value_kind:     by_value
      - .address_space:  global
        .offset:         64
        .size:           8
        .value_kind:     global_buffer
      - .offset:         72
        .size:           8
        .value_kind:     by_value
      - .offset:         80
        .size:           4
        .value_kind:     by_value
      - .offset:         84
        .size:           4
        .value_kind:     by_value
      - .offset:         88
        .size:           8
        .value_kind:     by_value
      - .offset:         96
        .size:           8
        .value_kind:     by_value
      - .address_space:  global
        .offset:         104
        .size:           8
        .value_kind:     global_buffer
      - .offset:         112
        .size:           8
        .value_kind:     by_value
      - .offset:         120
        .size:           4
        .value_kind:     by_value
      - .offset:         124
        .size:           4
        .value_kind:     by_value
      - .offset:         128
        .size:           8
        .value_kind:     by_value
      - .offset:         136
        .size:           4
        .value_kind:     hidden_block_count_x
      - .offset:         140
        .size:           4
        .value_kind:     hidden_block_count_y
      - .offset:         144
        .size:           4
        .value_kind:     hidden_block_count_z
      - .offset:         148
        .size:           2
        .value_kind:     hidden_group_size_x
      - .offset:         150
        .size:           2
        .value_kind:     hidden_group_size_y
      - .offset:         152
        .size:           2
        .value_kind:     hidden_group_size_z
      - .offset:         154
        .size:           2
        .value_kind:     hidden_remainder_x
      - .offset:         156
        .size:           2
        .value_kind:     hidden_remainder_y
      - .offset:         158
        .size:           2
        .value_kind:     hidden_remainder_z
      - .offset:         176
        .size:           8
        .value_kind:     hidden_global_offset_x
      - .offset:         184
        .size:           8
        .value_kind:     hidden_global_offset_y
      - .offset:         192
        .size:           8
        .value_kind:     hidden_global_offset_z
      - .offset:         200
        .size:           2
        .value_kind:     hidden_grid_dims
    .group_segment_fixed_size: 0
    .kernarg_segment_align: 8
    .kernarg_segment_size: 392
    .language:       OpenCL C
    .language_version:
      - 2
      - 0
    .max_flat_workgroup_size: 1024
    .name:           _ZN9rocsolver6v33100L11gemm_kernelI19rocblas_complex_numIfEiS3_PKPS3_S6_S6_EEvT0_S7_S7_T1_bT2_lS7_S7_lbT3_lS7_S7_lS8_T4_lS7_S7_l
    .private_segment_fixed_size: 0
    .sgpr_count:     32
    .sgpr_spill_count: 0
    .symbol:         _ZN9rocsolver6v33100L11gemm_kernelI19rocblas_complex_numIfEiS3_PKPS3_S6_S6_EEvT0_S7_S7_T1_bT2_lS7_S7_lbT3_lS7_S7_lS8_T4_lS7_S7_l.kd
    .uniform_work_group_size: 1
    .uses_dynamic_stack: false
    .vgpr_count:     17
    .vgpr_spill_count: 0
    .wavefront_size: 32
  - .args:
      - .address_space:  global
        .offset:         0
        .size:           8
        .value_kind:     global_buffer
      - .address_space:  global
        .offset:         8
        .size:           8
        .value_kind:     global_buffer
      - .offset:         16
        .size:           8
        .value_kind:     by_value
      - .offset:         24
        .size:           4
        .value_kind:     by_value
      - .offset:         32
        .size:           4
        .value_kind:     hidden_block_count_x
      - .offset:         36
        .size:           4
        .value_kind:     hidden_block_count_y
      - .offset:         40
        .size:           4
        .value_kind:     hidden_block_count_z
      - .offset:         44
        .size:           2
        .value_kind:     hidden_group_size_x
      - .offset:         46
        .size:           2
        .value_kind:     hidden_group_size_y
      - .offset:         48
        .size:           2
        .value_kind:     hidden_group_size_z
      - .offset:         50
        .size:           2
        .value_kind:     hidden_remainder_x
      - .offset:         52
        .size:           2
        .value_kind:     hidden_remainder_y
      - .offset:         54
        .size:           2
        .value_kind:     hidden_remainder_z
      - .offset:         72
        .size:           8
        .value_kind:     hidden_global_offset_x
      - .offset:         80
        .size:           8
        .value_kind:     hidden_global_offset_y
      - .offset:         88
        .size:           8
        .value_kind:     hidden_global_offset_z
      - .offset:         96
        .size:           2
        .value_kind:     hidden_grid_dims
    .group_segment_fixed_size: 0
    .kernarg_segment_align: 8
    .kernarg_segment_size: 288
    .language:       OpenCL C
    .language_version:
      - 2
      - 0
    .max_flat_workgroup_size: 1024
    .name:           _ZN9rocsolver6v33100L9get_arrayI19rocblas_complex_numIfEiEEvPPT_S5_lT0_
    .private_segment_fixed_size: 0
    .sgpr_count:     7
    .sgpr_spill_count: 0
    .symbol:         _ZN9rocsolver6v33100L9get_arrayI19rocblas_complex_numIfEiEEvPPT_S5_lT0_.kd
    .uniform_work_group_size: 1
    .uses_dynamic_stack: false
    .vgpr_count:     4
    .vgpr_spill_count: 0
    .wavefront_size: 32
  - .args:
      - .offset:         0
        .size:           4
        .value_kind:     by_value
      - .offset:         4
        .size:           4
        .value_kind:     by_value
      - .offset:         8
        .size:           4
        .value_kind:     by_value
      - .offset:         12
        .size:           4
        .value_kind:     by_value
      - .offset:         16
        .size:           4
        .value_kind:     by_value
      - .address_space:  global
        .offset:         24
        .size:           8
        .value_kind:     global_buffer
      - .address_space:  global
        .offset:         32
        .size:           8
        .value_kind:     global_buffer
      - .offset:         40
        .size:           8
        .value_kind:     by_value
      - .offset:         48
        .size:           4
        .value_kind:     by_value
      - .offset:         52
        .size:           4
        .value_kind:     by_value
      - .offset:         56
        .size:           8
        .value_kind:     by_value
      - .address_space:  global
        .offset:         64
        .size:           8
        .value_kind:     global_buffer
      - .offset:         72
        .size:           8
        .value_kind:     by_value
      - .offset:         80
        .size:           4
        .value_kind:     by_value
      - .offset:         84
        .size:           4
        .value_kind:     by_value
      - .offset:         88
        .size:           8
        .value_kind:     by_value
      - .address_space:  global
        .offset:         96
        .size:           8
        .value_kind:     global_buffer
      - .address_space:  global
        .offset:         104
        .size:           8
        .value_kind:     global_buffer
      - .offset:         112
        .size:           8
        .value_kind:     by_value
      - .offset:         120
        .size:           4
        .value_kind:     by_value
      - .offset:         124
        .size:           4
        .value_kind:     by_value
      - .offset:         128
        .size:           8
        .value_kind:     by_value
    .group_segment_fixed_size: 0
    .kernarg_segment_align: 8
    .kernarg_segment_size: 136
    .language:       OpenCL C
    .language_version:
      - 2
      - 0
    .max_flat_workgroup_size: 1024
    .name:           _ZN9rocsolver6v33100L16mfma_gemm_kernelI19rocblas_complex_numIfEiPKS3_PS3_PKS6_S8_EEv18rocblas_operation_S9_T0_SA_SA_T1_T2_lSA_SA_lT3_lSA_SA_lSB_T4_lSA_SA_l
    .private_segment_fixed_size: 0
    .sgpr_count:     0
    .sgpr_spill_count: 0
    .symbol:         _ZN9rocsolver6v33100L16mfma_gemm_kernelI19rocblas_complex_numIfEiPKS3_PS3_PKS6_S8_EEv18rocblas_operation_S9_T0_SA_SA_T1_T2_lSA_SA_lT3_lSA_SA_lSB_T4_lSA_SA_l.kd
    .uniform_work_group_size: 1
    .uses_dynamic_stack: false
    .vgpr_count:     0
    .vgpr_spill_count: 0
    .wavefront_size: 32
  - .args:
      - .offset:         0
        .size:           4
        .value_kind:     by_value
      - .offset:         4
        .size:           4
        .value_kind:     by_value
      - .offset:         8
        .size:           4
        .value_kind:     by_value
      - .offset:         12
        .size:           4
        .value_kind:     by_value
      - .offset:         16
        .size:           4
        .value_kind:     by_value
      - .offset:         20
        .size:           8
        .value_kind:     by_value
      - .address_space:  global
        .offset:         32
        .size:           8
        .value_kind:     global_buffer
      - .offset:         40
        .size:           8
        .value_kind:     by_value
      - .offset:         48
        .size:           4
        .value_kind:     by_value
      - .offset:         52
        .size:           4
        .value_kind:     by_value
      - .offset:         56
        .size:           8
        .value_kind:     by_value
      - .address_space:  global
        .offset:         64
        .size:           8
        .value_kind:     global_buffer
      - .offset:         72
        .size:           8
        .value_kind:     by_value
      - .offset:         80
        .size:           4
        .value_kind:     by_value
      - .offset:         84
        .size:           4
        .value_kind:     by_value
      - .offset:         88
        .size:           8
        .value_kind:     by_value
      - .offset:         96
        .size:           8
        .value_kind:     by_value
      - .address_space:  global
        .offset:         104
        .size:           8
        .value_kind:     global_buffer
      - .offset:         112
        .size:           8
        .value_kind:     by_value
      - .offset:         120
        .size:           4
        .value_kind:     by_value
      - .offset:         124
        .size:           4
        .value_kind:     by_value
      - .offset:         128
        .size:           8
        .value_kind:     by_value
    .group_segment_fixed_size: 0
    .kernarg_segment_align: 8
    .kernarg_segment_size: 136
    .language:       OpenCL C
    .language_version:
      - 2
      - 0
    .max_flat_workgroup_size: 1024
    .name:           _ZN9rocsolver6v33100L16mfma_gemm_kernelI19rocblas_complex_numIfEiS3_PS3_PKS4_S6_EEv18rocblas_operation_S7_T0_S8_S8_T1_T2_lS8_S8_lT3_lS8_S8_lS9_T4_lS8_S8_l
    .private_segment_fixed_size: 0
    .sgpr_count:     0
    .sgpr_spill_count: 0
    .symbol:         _ZN9rocsolver6v33100L16mfma_gemm_kernelI19rocblas_complex_numIfEiS3_PS3_PKS4_S6_EEv18rocblas_operation_S7_T0_S8_S8_T1_T2_lS8_S8_lT3_lS8_S8_lS9_T4_lS8_S8_l.kd
    .uniform_work_group_size: 1
    .uses_dynamic_stack: false
    .vgpr_count:     0
    .vgpr_spill_count: 0
    .wavefront_size: 32
  - .args:
      - .offset:         0
        .size:           4
        .value_kind:     by_value
      - .offset:         4
        .size:           4
        .value_kind:     by_value
      - .offset:         8
        .size:           4
        .value_kind:     by_value
      - .address_space:  global
        .offset:         16
        .size:           8
        .value_kind:     global_buffer
      - .offset:         24
        .size:           1
        .value_kind:     by_value
      - .address_space:  global
        .offset:         32
        .size:           8
        .value_kind:     global_buffer
      - .offset:         40
        .size:           8
        .value_kind:     by_value
      - .offset:         48
        .size:           4
        .value_kind:     by_value
      - .offset:         52
        .size:           4
        .value_kind:     by_value
      - .offset:         56
        .size:           8
        .value_kind:     by_value
      - .offset:         64
        .size:           1
        .value_kind:     by_value
      - .address_space:  global
        .offset:         72
        .size:           8
        .value_kind:     global_buffer
      - .offset:         80
        .size:           8
        .value_kind:     by_value
      - .offset:         88
        .size:           4
        .value_kind:     by_value
      - .offset:         92
        .size:           4
        .value_kind:     by_value
      - .offset:         96
        .size:           8
        .value_kind:     by_value
      - .address_space:  global
        .offset:         104
        .size:           8
        .value_kind:     global_buffer
      - .address_space:  global
        .offset:         112
        .size:           8
        .value_kind:     global_buffer
      - .offset:         120
        .size:           8
        .value_kind:     by_value
      - .offset:         128
        .size:           4
        .value_kind:     by_value
      - .offset:         132
        .size:           4
        .value_kind:     by_value
      - .offset:         136
        .size:           8
        .value_kind:     by_value
      - .offset:         144
        .size:           4
        .value_kind:     hidden_block_count_x
      - .offset:         148
        .size:           4
        .value_kind:     hidden_block_count_y
      - .offset:         152
        .size:           4
        .value_kind:     hidden_block_count_z
      - .offset:         156
        .size:           2
        .value_kind:     hidden_group_size_x
      - .offset:         158
        .size:           2
        .value_kind:     hidden_group_size_y
      - .offset:         160
        .size:           2
        .value_kind:     hidden_group_size_z
      - .offset:         162
        .size:           2
        .value_kind:     hidden_remainder_x
      - .offset:         164
        .size:           2
        .value_kind:     hidden_remainder_y
      - .offset:         166
        .size:           2
        .value_kind:     hidden_remainder_z
      - .offset:         184
        .size:           8
        .value_kind:     hidden_global_offset_x
      - .offset:         192
        .size:           8
        .value_kind:     hidden_global_offset_y
      - .offset:         200
        .size:           8
        .value_kind:     hidden_global_offset_z
      - .offset:         208
        .size:           2
        .value_kind:     hidden_grid_dims
    .group_segment_fixed_size: 0
    .kernarg_segment_align: 8
    .kernarg_segment_size: 400
    .language:       OpenCL C
    .language_version:
      - 2
      - 0
    .max_flat_workgroup_size: 1024
    .name:           _ZN9rocsolver6v33100L11gemm_kernelI19rocblas_complex_numIfEiPKS3_PS3_PKS6_S8_EEvT0_S9_S9_T1_bT2_lS9_S9_lbT3_lS9_S9_lSA_T4_lS9_S9_l
    .private_segment_fixed_size: 0
    .sgpr_count:     33
    .sgpr_spill_count: 0
    .symbol:         _ZN9rocsolver6v33100L11gemm_kernelI19rocblas_complex_numIfEiPKS3_PS3_PKS6_S8_EEvT0_S9_S9_T1_bT2_lS9_S9_lbT3_lS9_S9_lSA_T4_lS9_S9_l.kd
    .uniform_work_group_size: 1
    .uses_dynamic_stack: false
    .vgpr_count:     17
    .vgpr_spill_count: 0
    .wavefront_size: 32
  - .args:
      - .offset:         0
        .size:           4
        .value_kind:     by_value
      - .offset:         4
        .size:           4
        .value_kind:     by_value
      - .offset:         8
        .size:           4
        .value_kind:     by_value
      - .offset:         12
        .size:           8
        .value_kind:     by_value
      - .offset:         20
        .size:           1
        .value_kind:     by_value
      - .address_space:  global
        .offset:         24
        .size:           8
        .value_kind:     global_buffer
      - .offset:         32
        .size:           8
        .value_kind:     by_value
      - .offset:         40
        .size:           4
        .value_kind:     by_value
      - .offset:         44
        .size:           4
        .value_kind:     by_value
      - .offset:         48
        .size:           8
        .value_kind:     by_value
      - .offset:         56
        .size:           1
        .value_kind:     by_value
      - .address_space:  global
        .offset:         64
        .size:           8
        .value_kind:     global_buffer
      - .offset:         72
        .size:           8
        .value_kind:     by_value
      - .offset:         80
        .size:           4
        .value_kind:     by_value
      - .offset:         84
        .size:           4
        .value_kind:     by_value
      - .offset:         88
        .size:           8
        .value_kind:     by_value
      - .offset:         96
        .size:           8
        .value_kind:     by_value
      - .address_space:  global
        .offset:         104
        .size:           8
        .value_kind:     global_buffer
      - .offset:         112
        .size:           8
        .value_kind:     by_value
      - .offset:         120
        .size:           4
        .value_kind:     by_value
      - .offset:         124
        .size:           4
        .value_kind:     by_value
      - .offset:         128
        .size:           8
        .value_kind:     by_value
      - .offset:         136
        .size:           4
        .value_kind:     hidden_block_count_x
      - .offset:         140
        .size:           4
        .value_kind:     hidden_block_count_y
      - .offset:         144
        .size:           4
        .value_kind:     hidden_block_count_z
      - .offset:         148
        .size:           2
        .value_kind:     hidden_group_size_x
      - .offset:         150
        .size:           2
        .value_kind:     hidden_group_size_y
      - .offset:         152
        .size:           2
        .value_kind:     hidden_group_size_z
      - .offset:         154
        .size:           2
        .value_kind:     hidden_remainder_x
      - .offset:         156
        .size:           2
        .value_kind:     hidden_remainder_y
      - .offset:         158
        .size:           2
        .value_kind:     hidden_remainder_z
      - .offset:         176
        .size:           8
        .value_kind:     hidden_global_offset_x
      - .offset:         184
        .size:           8
        .value_kind:     hidden_global_offset_y
      - .offset:         192
        .size:           8
        .value_kind:     hidden_global_offset_z
      - .offset:         200
        .size:           2
        .value_kind:     hidden_grid_dims
    .group_segment_fixed_size: 0
    .kernarg_segment_align: 8
    .kernarg_segment_size: 392
    .language:       OpenCL C
    .language_version:
      - 2
      - 0
    .max_flat_workgroup_size: 1024
    .name:           _ZN9rocsolver6v33100L11gemm_kernelI19rocblas_complex_numIfEiS3_PS3_PKS4_S6_EEvT0_S7_S7_T1_bT2_lS7_S7_lbT3_lS7_S7_lS8_T4_lS7_S7_l
    .private_segment_fixed_size: 0
    .sgpr_count:     33
    .sgpr_spill_count: 0
    .symbol:         _ZN9rocsolver6v33100L11gemm_kernelI19rocblas_complex_numIfEiS3_PS3_PKS4_S6_EEvT0_S7_S7_T1_bT2_lS7_S7_lbT3_lS7_S7_lS8_T4_lS7_S7_l.kd
    .uniform_work_group_size: 1
    .uses_dynamic_stack: false
    .vgpr_count:     17
    .vgpr_spill_count: 0
    .wavefront_size: 32
  - .args:
      - .offset:         0
        .size:           4
        .value_kind:     by_value
      - .offset:         4
        .size:           4
        .value_kind:     by_value
      - .offset:         8
        .size:           4
        .value_kind:     by_value
      - .offset:         12
        .size:           4
        .value_kind:     by_value
      - .offset:         16
        .size:           4
        .value_kind:     by_value
      - .address_space:  global
        .offset:         24
        .size:           8
        .value_kind:     global_buffer
      - .address_space:  global
        .offset:         32
        .size:           8
        .value_kind:     global_buffer
      - .offset:         40
        .size:           8
        .value_kind:     by_value
      - .offset:         48
        .size:           4
        .value_kind:     by_value
      - .offset:         52
        .size:           4
        .value_kind:     by_value
      - .offset:         56
        .size:           8
        .value_kind:     by_value
      - .address_space:  global
        .offset:         64
        .size:           8
        .value_kind:     global_buffer
      - .offset:         72
        .size:           8
        .value_kind:     by_value
      - .offset:         80
        .size:           4
        .value_kind:     by_value
      - .offset:         84
        .size:           4
        .value_kind:     by_value
      - .offset:         88
        .size:           8
        .value_kind:     by_value
      - .address_space:  global
        .offset:         96
        .size:           8
        .value_kind:     global_buffer
      - .address_space:  global
        .offset:         104
        .size:           8
        .value_kind:     global_buffer
      - .offset:         112
        .size:           8
        .value_kind:     by_value
      - .offset:         120
        .size:           4
        .value_kind:     by_value
      - .offset:         124
        .size:           4
        .value_kind:     by_value
      - .offset:         128
        .size:           8
        .value_kind:     by_value
    .group_segment_fixed_size: 0
    .kernarg_segment_align: 8
    .kernarg_segment_size: 136
    .language:       OpenCL C
    .language_version:
      - 2
      - 0
    .max_flat_workgroup_size: 1024
    .name:           _ZN9rocsolver6v33100L16mfma_gemm_kernelI19rocblas_complex_numIfEiPKS3_PKPS3_S6_S8_EEv18rocblas_operation_S9_T0_SA_SA_T1_T2_lSA_SA_lT3_lSA_SA_lSB_T4_lSA_SA_l
    .private_segment_fixed_size: 0
    .sgpr_count:     0
    .sgpr_spill_count: 0
    .symbol:         _ZN9rocsolver6v33100L16mfma_gemm_kernelI19rocblas_complex_numIfEiPKS3_PKPS3_S6_S8_EEv18rocblas_operation_S9_T0_SA_SA_T1_T2_lSA_SA_lT3_lSA_SA_lSB_T4_lSA_SA_l.kd
    .uniform_work_group_size: 1
    .uses_dynamic_stack: false
    .vgpr_count:     0
    .vgpr_spill_count: 0
    .wavefront_size: 32
  - .args:
      - .offset:         0
        .size:           4
        .value_kind:     by_value
      - .offset:         4
        .size:           4
        .value_kind:     by_value
      - .offset:         8
        .size:           4
        .value_kind:     by_value
      - .offset:         12
        .size:           4
        .value_kind:     by_value
      - .offset:         16
        .size:           4
        .value_kind:     by_value
      - .offset:         20
        .size:           8
        .value_kind:     by_value
      - .address_space:  global
        .offset:         32
        .size:           8
        .value_kind:     global_buffer
      - .offset:         40
        .size:           8
        .value_kind:     by_value
      - .offset:         48
        .size:           4
        .value_kind:     by_value
      - .offset:         52
        .size:           4
        .value_kind:     by_value
      - .offset:         56
        .size:           8
        .value_kind:     by_value
      - .address_space:  global
        .offset:         64
        .size:           8
        .value_kind:     global_buffer
      - .offset:         72
        .size:           8
        .value_kind:     by_value
      - .offset:         80
        .size:           4
        .value_kind:     by_value
      - .offset:         84
        .size:           4
        .value_kind:     by_value
      - .offset:         88
        .size:           8
        .value_kind:     by_value
      - .offset:         96
        .size:           8
        .value_kind:     by_value
      - .address_space:  global
        .offset:         104
        .size:           8
        .value_kind:     global_buffer
      - .offset:         112
        .size:           8
        .value_kind:     by_value
      - .offset:         120
        .size:           4
        .value_kind:     by_value
      - .offset:         124
        .size:           4
        .value_kind:     by_value
      - .offset:         128
        .size:           8
        .value_kind:     by_value
    .group_segment_fixed_size: 0
    .kernarg_segment_align: 8
    .kernarg_segment_size: 136
    .language:       OpenCL C
    .language_version:
      - 2
      - 0
    .max_flat_workgroup_size: 1024
    .name:           _ZN9rocsolver6v33100L16mfma_gemm_kernelI19rocblas_complex_numIfEiS3_PKPS3_S4_S6_EEv18rocblas_operation_S7_T0_S8_S8_T1_T2_lS8_S8_lT3_lS8_S8_lS9_T4_lS8_S8_l
    .private_segment_fixed_size: 0
    .sgpr_count:     0
    .sgpr_spill_count: 0
    .symbol:         _ZN9rocsolver6v33100L16mfma_gemm_kernelI19rocblas_complex_numIfEiS3_PKPS3_S4_S6_EEv18rocblas_operation_S7_T0_S8_S8_T1_T2_lS8_S8_lT3_lS8_S8_lS9_T4_lS8_S8_l.kd
    .uniform_work_group_size: 1
    .uses_dynamic_stack: false
    .vgpr_count:     0
    .vgpr_spill_count: 0
    .wavefront_size: 32
  - .args:
      - .offset:         0
        .size:           4
        .value_kind:     by_value
      - .offset:         4
        .size:           4
        .value_kind:     by_value
      - .offset:         8
        .size:           4
        .value_kind:     by_value
      - .address_space:  global
        .offset:         16
        .size:           8
        .value_kind:     global_buffer
      - .offset:         24
        .size:           1
        .value_kind:     by_value
      - .address_space:  global
        .offset:         32
        .size:           8
        .value_kind:     global_buffer
      - .offset:         40
        .size:           8
        .value_kind:     by_value
      - .offset:         48
        .size:           4
        .value_kind:     by_value
      - .offset:         52
        .size:           4
        .value_kind:     by_value
      - .offset:         56
        .size:           8
        .value_kind:     by_value
      - .offset:         64
        .size:           1
        .value_kind:     by_value
      - .address_space:  global
        .offset:         72
        .size:           8
        .value_kind:     global_buffer
      - .offset:         80
        .size:           8
        .value_kind:     by_value
      - .offset:         88
        .size:           4
        .value_kind:     by_value
      - .offset:         92
        .size:           4
        .value_kind:     by_value
      - .offset:         96
        .size:           8
        .value_kind:     by_value
      - .address_space:  global
        .offset:         104
        .size:           8
        .value_kind:     global_buffer
      - .address_space:  global
        .offset:         112
        .size:           8
        .value_kind:     global_buffer
      - .offset:         120
        .size:           8
        .value_kind:     by_value
      - .offset:         128
        .size:           4
        .value_kind:     by_value
      - .offset:         132
        .size:           4
        .value_kind:     by_value
      - .offset:         136
        .size:           8
        .value_kind:     by_value
      - .offset:         144
        .size:           4
        .value_kind:     hidden_block_count_x
      - .offset:         148
        .size:           4
        .value_kind:     hidden_block_count_y
      - .offset:         152
        .size:           4
        .value_kind:     hidden_block_count_z
      - .offset:         156
        .size:           2
        .value_kind:     hidden_group_size_x
      - .offset:         158
        .size:           2
        .value_kind:     hidden_group_size_y
      - .offset:         160
        .size:           2
        .value_kind:     hidden_group_size_z
      - .offset:         162
        .size:           2
        .value_kind:     hidden_remainder_x
      - .offset:         164
        .size:           2
        .value_kind:     hidden_remainder_y
      - .offset:         166
        .size:           2
        .value_kind:     hidden_remainder_z
      - .offset:         184
        .size:           8
        .value_kind:     hidden_global_offset_x
      - .offset:         192
        .size:           8
        .value_kind:     hidden_global_offset_y
      - .offset:         200
        .size:           8
        .value_kind:     hidden_global_offset_z
      - .offset:         208
        .size:           2
        .value_kind:     hidden_grid_dims
    .group_segment_fixed_size: 0
    .kernarg_segment_align: 8
    .kernarg_segment_size: 400
    .language:       OpenCL C
    .language_version:
      - 2
      - 0
    .max_flat_workgroup_size: 1024
    .name:           _ZN9rocsolver6v33100L11gemm_kernelI19rocblas_complex_numIfEiPKS3_PKPS3_S6_S8_EEvT0_S9_S9_T1_bT2_lS9_S9_lbT3_lS9_S9_lSA_T4_lS9_S9_l
    .private_segment_fixed_size: 0
    .sgpr_count:     31
    .sgpr_spill_count: 0
    .symbol:         _ZN9rocsolver6v33100L11gemm_kernelI19rocblas_complex_numIfEiPKS3_PKPS3_S6_S8_EEvT0_S9_S9_T1_bT2_lS9_S9_lbT3_lS9_S9_lSA_T4_lS9_S9_l.kd
    .uniform_work_group_size: 1
    .uses_dynamic_stack: false
    .vgpr_count:     17
    .vgpr_spill_count: 0
    .wavefront_size: 32
  - .args:
      - .offset:         0
        .size:           4
        .value_kind:     by_value
      - .offset:         4
        .size:           4
        .value_kind:     by_value
      - .offset:         8
        .size:           4
        .value_kind:     by_value
      - .offset:         12
        .size:           8
        .value_kind:     by_value
      - .offset:         20
        .size:           1
        .value_kind:     by_value
      - .address_space:  global
        .offset:         24
        .size:           8
        .value_kind:     global_buffer
      - .offset:         32
        .size:           8
        .value_kind:     by_value
      - .offset:         40
        .size:           4
        .value_kind:     by_value
      - .offset:         44
        .size:           4
        .value_kind:     by_value
      - .offset:         48
        .size:           8
        .value_kind:     by_value
      - .offset:         56
        .size:           1
        .value_kind:     by_value
      - .address_space:  global
        .offset:         64
        .size:           8
        .value_kind:     global_buffer
      - .offset:         72
        .size:           8
        .value_kind:     by_value
      - .offset:         80
        .size:           4
        .value_kind:     by_value
      - .offset:         84
        .size:           4
        .value_kind:     by_value
      - .offset:         88
        .size:           8
        .value_kind:     by_value
      - .offset:         96
        .size:           8
        .value_kind:     by_value
      - .address_space:  global
        .offset:         104
        .size:           8
        .value_kind:     global_buffer
      - .offset:         112
        .size:           8
        .value_kind:     by_value
      - .offset:         120
        .size:           4
        .value_kind:     by_value
      - .offset:         124
        .size:           4
        .value_kind:     by_value
      - .offset:         128
        .size:           8
        .value_kind:     by_value
      - .offset:         136
        .size:           4
        .value_kind:     hidden_block_count_x
      - .offset:         140
        .size:           4
        .value_kind:     hidden_block_count_y
      - .offset:         144
        .size:           4
        .value_kind:     hidden_block_count_z
      - .offset:         148
        .size:           2
        .value_kind:     hidden_group_size_x
      - .offset:         150
        .size:           2
        .value_kind:     hidden_group_size_y
      - .offset:         152
        .size:           2
        .value_kind:     hidden_group_size_z
      - .offset:         154
        .size:           2
        .value_kind:     hidden_remainder_x
      - .offset:         156
        .size:           2
        .value_kind:     hidden_remainder_y
      - .offset:         158
        .size:           2
        .value_kind:     hidden_remainder_z
      - .offset:         176
        .size:           8
        .value_kind:     hidden_global_offset_x
      - .offset:         184
        .size:           8
        .value_kind:     hidden_global_offset_y
      - .offset:         192
        .size:           8
        .value_kind:     hidden_global_offset_z
      - .offset:         200
        .size:           2
        .value_kind:     hidden_grid_dims
    .group_segment_fixed_size: 0
    .kernarg_segment_align: 8
    .kernarg_segment_size: 392
    .language:       OpenCL C
    .language_version:
      - 2
      - 0
    .max_flat_workgroup_size: 1024
    .name:           _ZN9rocsolver6v33100L11gemm_kernelI19rocblas_complex_numIfEiS3_PKPS3_S4_S6_EEvT0_S7_S7_T1_bT2_lS7_S7_lbT3_lS7_S7_lS8_T4_lS7_S7_l
    .private_segment_fixed_size: 0
    .sgpr_count:     31
    .sgpr_spill_count: 0
    .symbol:         _ZN9rocsolver6v33100L11gemm_kernelI19rocblas_complex_numIfEiS3_PKPS3_S4_S6_EEvT0_S7_S7_T1_bT2_lS7_S7_lbT3_lS7_S7_lS8_T4_lS7_S7_l.kd
    .uniform_work_group_size: 1
    .uses_dynamic_stack: false
    .vgpr_count:     17
    .vgpr_spill_count: 0
    .wavefront_size: 32
  - .args:
      - .offset:         0
        .size:           4
        .value_kind:     by_value
      - .offset:         4
        .size:           4
        .value_kind:     by_value
      - .offset:         8
        .size:           4
        .value_kind:     by_value
      - .offset:         12
        .size:           4
        .value_kind:     by_value
      - .offset:         16
        .size:           4
        .value_kind:     by_value
      - .address_space:  global
        .offset:         24
        .size:           8
        .value_kind:     global_buffer
      - .address_space:  global
        .offset:         32
        .size:           8
        .value_kind:     global_buffer
      - .offset:         40
        .size:           8
        .value_kind:     by_value
      - .offset:         48
        .size:           4
        .value_kind:     by_value
      - .offset:         52
        .size:           4
        .value_kind:     by_value
      - .offset:         56
        .size:           8
        .value_kind:     by_value
      - .address_space:  global
        .offset:         64
        .size:           8
        .value_kind:     global_buffer
      - .offset:         72
        .size:           8
        .value_kind:     by_value
      - .offset:         80
        .size:           4
        .value_kind:     by_value
      - .offset:         84
        .size:           4
        .value_kind:     by_value
      - .offset:         88
        .size:           8
        .value_kind:     by_value
      - .address_space:  global
        .offset:         96
        .size:           8
        .value_kind:     global_buffer
      - .address_space:  global
        .offset:         104
        .size:           8
        .value_kind:     global_buffer
      - .offset:         112
        .size:           8
        .value_kind:     by_value
      - .offset:         120
        .size:           4
        .value_kind:     by_value
      - .offset:         124
        .size:           4
        .value_kind:     by_value
      - .offset:         128
        .size:           8
        .value_kind:     by_value
    .group_segment_fixed_size: 0
    .kernarg_segment_align: 8
    .kernarg_segment_size: 136
    .language:       OpenCL C
    .language_version:
      - 2
      - 0
    .max_flat_workgroup_size: 1024
    .name:           _ZN9rocsolver6v33100L16mfma_gemm_kernelI19rocblas_complex_numIfEiPKS3_PKPS3_S8_S6_EEv18rocblas_operation_S9_T0_SA_SA_T1_T2_lSA_SA_lT3_lSA_SA_lSB_T4_lSA_SA_l
    .private_segment_fixed_size: 0
    .sgpr_count:     0
    .sgpr_spill_count: 0
    .symbol:         _ZN9rocsolver6v33100L16mfma_gemm_kernelI19rocblas_complex_numIfEiPKS3_PKPS3_S8_S6_EEv18rocblas_operation_S9_T0_SA_SA_T1_T2_lSA_SA_lT3_lSA_SA_lSB_T4_lSA_SA_l.kd
    .uniform_work_group_size: 1
    .uses_dynamic_stack: false
    .vgpr_count:     0
    .vgpr_spill_count: 0
    .wavefront_size: 32
  - .args:
      - .offset:         0
        .size:           4
        .value_kind:     by_value
      - .offset:         4
        .size:           4
        .value_kind:     by_value
      - .offset:         8
        .size:           4
        .value_kind:     by_value
      - .offset:         12
        .size:           4
        .value_kind:     by_value
      - .offset:         16
        .size:           4
        .value_kind:     by_value
      - .offset:         20
        .size:           8
        .value_kind:     by_value
      - .address_space:  global
        .offset:         32
        .size:           8
        .value_kind:     global_buffer
      - .offset:         40
        .size:           8
        .value_kind:     by_value
      - .offset:         48
        .size:           4
        .value_kind:     by_value
      - .offset:         52
        .size:           4
        .value_kind:     by_value
      - .offset:         56
        .size:           8
        .value_kind:     by_value
      - .address_space:  global
        .offset:         64
        .size:           8
        .value_kind:     global_buffer
      - .offset:         72
        .size:           8
        .value_kind:     by_value
      - .offset:         80
        .size:           4
        .value_kind:     by_value
      - .offset:         84
        .size:           4
        .value_kind:     by_value
      - .offset:         88
        .size:           8
        .value_kind:     by_value
      - .offset:         96
        .size:           8
        .value_kind:     by_value
      - .address_space:  global
        .offset:         104
        .size:           8
        .value_kind:     global_buffer
      - .offset:         112
        .size:           8
        .value_kind:     by_value
      - .offset:         120
        .size:           4
        .value_kind:     by_value
      - .offset:         124
        .size:           4
        .value_kind:     by_value
      - .offset:         128
        .size:           8
        .value_kind:     by_value
    .group_segment_fixed_size: 0
    .kernarg_segment_align: 8
    .kernarg_segment_size: 136
    .language:       OpenCL C
    .language_version:
      - 2
      - 0
    .max_flat_workgroup_size: 1024
    .name:           _ZN9rocsolver6v33100L16mfma_gemm_kernelI19rocblas_complex_numIfEiS3_PKPS3_S6_S4_EEv18rocblas_operation_S7_T0_S8_S8_T1_T2_lS8_S8_lT3_lS8_S8_lS9_T4_lS8_S8_l
    .private_segment_fixed_size: 0
    .sgpr_count:     0
    .sgpr_spill_count: 0
    .symbol:         _ZN9rocsolver6v33100L16mfma_gemm_kernelI19rocblas_complex_numIfEiS3_PKPS3_S6_S4_EEv18rocblas_operation_S7_T0_S8_S8_T1_T2_lS8_S8_lT3_lS8_S8_lS9_T4_lS8_S8_l.kd
    .uniform_work_group_size: 1
    .uses_dynamic_stack: false
    .vgpr_count:     0
    .vgpr_spill_count: 0
    .wavefront_size: 32
  - .args:
      - .offset:         0
        .size:           4
        .value_kind:     by_value
      - .offset:         4
        .size:           4
        .value_kind:     by_value
      - .offset:         8
        .size:           4
        .value_kind:     by_value
      - .address_space:  global
        .offset:         16
        .size:           8
        .value_kind:     global_buffer
      - .offset:         24
        .size:           1
        .value_kind:     by_value
      - .address_space:  global
        .offset:         32
        .size:           8
        .value_kind:     global_buffer
      - .offset:         40
        .size:           8
        .value_kind:     by_value
      - .offset:         48
        .size:           4
        .value_kind:     by_value
      - .offset:         52
        .size:           4
        .value_kind:     by_value
      - .offset:         56
        .size:           8
        .value_kind:     by_value
      - .offset:         64
        .size:           1
        .value_kind:     by_value
      - .address_space:  global
        .offset:         72
        .size:           8
        .value_kind:     global_buffer
      - .offset:         80
        .size:           8
        .value_kind:     by_value
      - .offset:         88
        .size:           4
        .value_kind:     by_value
      - .offset:         92
        .size:           4
        .value_kind:     by_value
      - .offset:         96
        .size:           8
        .value_kind:     by_value
      - .address_space:  global
        .offset:         104
        .size:           8
        .value_kind:     global_buffer
      - .address_space:  global
        .offset:         112
        .size:           8
        .value_kind:     global_buffer
      - .offset:         120
        .size:           8
        .value_kind:     by_value
      - .offset:         128
        .size:           4
        .value_kind:     by_value
      - .offset:         132
        .size:           4
        .value_kind:     by_value
      - .offset:         136
        .size:           8
        .value_kind:     by_value
      - .offset:         144
        .size:           4
        .value_kind:     hidden_block_count_x
      - .offset:         148
        .size:           4
        .value_kind:     hidden_block_count_y
      - .offset:         152
        .size:           4
        .value_kind:     hidden_block_count_z
      - .offset:         156
        .size:           2
        .value_kind:     hidden_group_size_x
      - .offset:         158
        .size:           2
        .value_kind:     hidden_group_size_y
      - .offset:         160
        .size:           2
        .value_kind:     hidden_group_size_z
      - .offset:         162
        .size:           2
        .value_kind:     hidden_remainder_x
      - .offset:         164
        .size:           2
        .value_kind:     hidden_remainder_y
      - .offset:         166
        .size:           2
        .value_kind:     hidden_remainder_z
      - .offset:         184
        .size:           8
        .value_kind:     hidden_global_offset_x
      - .offset:         192
        .size:           8
        .value_kind:     hidden_global_offset_y
      - .offset:         200
        .size:           8
        .value_kind:     hidden_global_offset_z
      - .offset:         208
        .size:           2
        .value_kind:     hidden_grid_dims
    .group_segment_fixed_size: 0
    .kernarg_segment_align: 8
    .kernarg_segment_size: 400
    .language:       OpenCL C
    .language_version:
      - 2
      - 0
    .max_flat_workgroup_size: 1024
    .name:           _ZN9rocsolver6v33100L11gemm_kernelI19rocblas_complex_numIfEiPKS3_PKPS3_S8_S6_EEvT0_S9_S9_T1_bT2_lS9_S9_lbT3_lS9_S9_lSA_T4_lS9_S9_l
    .private_segment_fixed_size: 0
    .sgpr_count:     33
    .sgpr_spill_count: 0
    .symbol:         _ZN9rocsolver6v33100L11gemm_kernelI19rocblas_complex_numIfEiPKS3_PKPS3_S8_S6_EEvT0_S9_S9_T1_bT2_lS9_S9_lbT3_lS9_S9_lSA_T4_lS9_S9_l.kd
    .uniform_work_group_size: 1
    .uses_dynamic_stack: false
    .vgpr_count:     17
    .vgpr_spill_count: 0
    .wavefront_size: 32
  - .args:
      - .offset:         0
        .size:           4
        .value_kind:     by_value
      - .offset:         4
        .size:           4
        .value_kind:     by_value
      - .offset:         8
        .size:           4
        .value_kind:     by_value
      - .offset:         12
        .size:           8
        .value_kind:     by_value
      - .offset:         20
        .size:           1
        .value_kind:     by_value
      - .address_space:  global
        .offset:         24
        .size:           8
        .value_kind:     global_buffer
      - .offset:         32
        .size:           8
        .value_kind:     by_value
      - .offset:         40
        .size:           4
        .value_kind:     by_value
      - .offset:         44
        .size:           4
        .value_kind:     by_value
      - .offset:         48
        .size:           8
        .value_kind:     by_value
      - .offset:         56
        .size:           1
        .value_kind:     by_value
      - .address_space:  global
        .offset:         64
        .size:           8
        .value_kind:     global_buffer
      - .offset:         72
        .size:           8
        .value_kind:     by_value
      - .offset:         80
        .size:           4
        .value_kind:     by_value
      - .offset:         84
        .size:           4
        .value_kind:     by_value
      - .offset:         88
        .size:           8
        .value_kind:     by_value
      - .offset:         96
        .size:           8
        .value_kind:     by_value
      - .address_space:  global
        .offset:         104
        .size:           8
        .value_kind:     global_buffer
      - .offset:         112
        .size:           8
        .value_kind:     by_value
      - .offset:         120
        .size:           4
        .value_kind:     by_value
      - .offset:         124
        .size:           4
        .value_kind:     by_value
      - .offset:         128
        .size:           8
        .value_kind:     by_value
      - .offset:         136
        .size:           4
        .value_kind:     hidden_block_count_x
      - .offset:         140
        .size:           4
        .value_kind:     hidden_block_count_y
      - .offset:         144
        .size:           4
        .value_kind:     hidden_block_count_z
      - .offset:         148
        .size:           2
        .value_kind:     hidden_group_size_x
      - .offset:         150
        .size:           2
        .value_kind:     hidden_group_size_y
      - .offset:         152
        .size:           2
        .value_kind:     hidden_group_size_z
      - .offset:         154
        .size:           2
        .value_kind:     hidden_remainder_x
      - .offset:         156
        .size:           2
        .value_kind:     hidden_remainder_y
      - .offset:         158
        .size:           2
        .value_kind:     hidden_remainder_z
      - .offset:         176
        .size:           8
        .value_kind:     hidden_global_offset_x
      - .offset:         184
        .size:           8
        .value_kind:     hidden_global_offset_y
      - .offset:         192
        .size:           8
        .value_kind:     hidden_global_offset_z
      - .offset:         200
        .size:           2
        .value_kind:     hidden_grid_dims
    .group_segment_fixed_size: 0
    .kernarg_segment_align: 8
    .kernarg_segment_size: 392
    .language:       OpenCL C
    .language_version:
      - 2
      - 0
    .max_flat_workgroup_size: 1024
    .name:           _ZN9rocsolver6v33100L11gemm_kernelI19rocblas_complex_numIfEiS3_PKPS3_S6_S4_EEvT0_S7_S7_T1_bT2_lS7_S7_lbT3_lS7_S7_lS8_T4_lS7_S7_l
    .private_segment_fixed_size: 0
    .sgpr_count:     29
    .sgpr_spill_count: 0
    .symbol:         _ZN9rocsolver6v33100L11gemm_kernelI19rocblas_complex_numIfEiS3_PKPS3_S6_S4_EEvT0_S7_S7_T1_bT2_lS7_S7_lbT3_lS7_S7_lS8_T4_lS7_S7_l.kd
    .uniform_work_group_size: 1
    .uses_dynamic_stack: false
    .vgpr_count:     17
    .vgpr_spill_count: 0
    .wavefront_size: 32
  - .args:
      - .offset:         0
        .size:           4
        .value_kind:     by_value
      - .offset:         4
        .size:           4
        .value_kind:     by_value
      - .offset:         8
        .size:           4
        .value_kind:     by_value
      - .offset:         12
        .size:           4
        .value_kind:     by_value
      - .offset:         16
        .size:           4
        .value_kind:     by_value
      - .address_space:  global
        .offset:         24
        .size:           8
        .value_kind:     global_buffer
      - .address_space:  global
        .offset:         32
        .size:           8
        .value_kind:     global_buffer
      - .offset:         40
        .size:           8
        .value_kind:     by_value
      - .offset:         48
        .size:           4
        .value_kind:     by_value
      - .offset:         52
        .size:           4
        .value_kind:     by_value
      - .offset:         56
        .size:           8
        .value_kind:     by_value
      - .address_space:  global
        .offset:         64
        .size:           8
        .value_kind:     global_buffer
      - .offset:         72
        .size:           8
        .value_kind:     by_value
      - .offset:         80
        .size:           4
        .value_kind:     by_value
      - .offset:         84
        .size:           4
        .value_kind:     by_value
      - .offset:         88
        .size:           8
        .value_kind:     by_value
      - .address_space:  global
        .offset:         96
        .size:           8
        .value_kind:     global_buffer
      - .address_space:  global
        .offset:         104
        .size:           8
        .value_kind:     global_buffer
      - .offset:         112
        .size:           8
        .value_kind:     by_value
      - .offset:         120
        .size:           4
        .value_kind:     by_value
      - .offset:         124
        .size:           4
        .value_kind:     by_value
      - .offset:         128
        .size:           8
        .value_kind:     by_value
    .group_segment_fixed_size: 0
    .kernarg_segment_align: 8
    .kernarg_segment_size: 136
    .language:       OpenCL C
    .language_version:
      - 2
      - 0
    .max_flat_workgroup_size: 1024
    .name:           _ZN9rocsolver6v33100L16mfma_gemm_kernelI19rocblas_complex_numIfEiPKS3_PKPS3_S6_S6_EEv18rocblas_operation_S9_T0_SA_SA_T1_T2_lSA_SA_lT3_lSA_SA_lSB_T4_lSA_SA_l
    .private_segment_fixed_size: 0
    .sgpr_count:     0
    .sgpr_spill_count: 0
    .symbol:         _ZN9rocsolver6v33100L16mfma_gemm_kernelI19rocblas_complex_numIfEiPKS3_PKPS3_S6_S6_EEv18rocblas_operation_S9_T0_SA_SA_T1_T2_lSA_SA_lT3_lSA_SA_lSB_T4_lSA_SA_l.kd
    .uniform_work_group_size: 1
    .uses_dynamic_stack: false
    .vgpr_count:     0
    .vgpr_spill_count: 0
    .wavefront_size: 32
  - .args:
      - .offset:         0
        .size:           4
        .value_kind:     by_value
      - .offset:         4
        .size:           4
        .value_kind:     by_value
      - .offset:         8
        .size:           4
        .value_kind:     by_value
      - .offset:         12
        .size:           4
        .value_kind:     by_value
      - .offset:         16
        .size:           4
        .value_kind:     by_value
      - .offset:         20
        .size:           8
        .value_kind:     by_value
      - .address_space:  global
        .offset:         32
        .size:           8
        .value_kind:     global_buffer
      - .offset:         40
        .size:           8
        .value_kind:     by_value
      - .offset:         48
        .size:           4
        .value_kind:     by_value
      - .offset:         52
        .size:           4
        .value_kind:     by_value
      - .offset:         56
        .size:           8
        .value_kind:     by_value
      - .address_space:  global
        .offset:         64
        .size:           8
        .value_kind:     global_buffer
      - .offset:         72
        .size:           8
        .value_kind:     by_value
      - .offset:         80
        .size:           4
        .value_kind:     by_value
      - .offset:         84
        .size:           4
        .value_kind:     by_value
      - .offset:         88
        .size:           8
        .value_kind:     by_value
      - .offset:         96
        .size:           8
        .value_kind:     by_value
      - .address_space:  global
        .offset:         104
        .size:           8
        .value_kind:     global_buffer
      - .offset:         112
        .size:           8
        .value_kind:     by_value
      - .offset:         120
        .size:           4
        .value_kind:     by_value
      - .offset:         124
        .size:           4
        .value_kind:     by_value
      - .offset:         128
        .size:           8
        .value_kind:     by_value
    .group_segment_fixed_size: 0
    .kernarg_segment_align: 8
    .kernarg_segment_size: 136
    .language:       OpenCL C
    .language_version:
      - 2
      - 0
    .max_flat_workgroup_size: 1024
    .name:           _ZN9rocsolver6v33100L16mfma_gemm_kernelI19rocblas_complex_numIfEiS3_PKPS3_S4_S4_EEv18rocblas_operation_S7_T0_S8_S8_T1_T2_lS8_S8_lT3_lS8_S8_lS9_T4_lS8_S8_l
    .private_segment_fixed_size: 0
    .sgpr_count:     0
    .sgpr_spill_count: 0
    .symbol:         _ZN9rocsolver6v33100L16mfma_gemm_kernelI19rocblas_complex_numIfEiS3_PKPS3_S4_S4_EEv18rocblas_operation_S7_T0_S8_S8_T1_T2_lS8_S8_lT3_lS8_S8_lS9_T4_lS8_S8_l.kd
    .uniform_work_group_size: 1
    .uses_dynamic_stack: false
    .vgpr_count:     0
    .vgpr_spill_count: 0
    .wavefront_size: 32
  - .args:
      - .offset:         0
        .size:           4
        .value_kind:     by_value
      - .offset:         4
        .size:           4
        .value_kind:     by_value
      - .offset:         8
        .size:           4
        .value_kind:     by_value
      - .address_space:  global
        .offset:         16
        .size:           8
        .value_kind:     global_buffer
      - .offset:         24
        .size:           1
        .value_kind:     by_value
      - .address_space:  global
        .offset:         32
        .size:           8
        .value_kind:     global_buffer
      - .offset:         40
        .size:           8
        .value_kind:     by_value
      - .offset:         48
        .size:           4
        .value_kind:     by_value
      - .offset:         52
        .size:           4
        .value_kind:     by_value
      - .offset:         56
        .size:           8
        .value_kind:     by_value
      - .offset:         64
        .size:           1
        .value_kind:     by_value
      - .address_space:  global
        .offset:         72
        .size:           8
        .value_kind:     global_buffer
      - .offset:         80
        .size:           8
        .value_kind:     by_value
      - .offset:         88
        .size:           4
        .value_kind:     by_value
      - .offset:         92
        .size:           4
        .value_kind:     by_value
      - .offset:         96
        .size:           8
        .value_kind:     by_value
      - .address_space:  global
        .offset:         104
        .size:           8
        .value_kind:     global_buffer
      - .address_space:  global
        .offset:         112
        .size:           8
        .value_kind:     global_buffer
      - .offset:         120
        .size:           8
        .value_kind:     by_value
      - .offset:         128
        .size:           4
        .value_kind:     by_value
      - .offset:         132
        .size:           4
        .value_kind:     by_value
      - .offset:         136
        .size:           8
        .value_kind:     by_value
      - .offset:         144
        .size:           4
        .value_kind:     hidden_block_count_x
      - .offset:         148
        .size:           4
        .value_kind:     hidden_block_count_y
      - .offset:         152
        .size:           4
        .value_kind:     hidden_block_count_z
      - .offset:         156
        .size:           2
        .value_kind:     hidden_group_size_x
      - .offset:         158
        .size:           2
        .value_kind:     hidden_group_size_y
      - .offset:         160
        .size:           2
        .value_kind:     hidden_group_size_z
      - .offset:         162
        .size:           2
        .value_kind:     hidden_remainder_x
      - .offset:         164
        .size:           2
        .value_kind:     hidden_remainder_y
      - .offset:         166
        .size:           2
        .value_kind:     hidden_remainder_z
      - .offset:         184
        .size:           8
        .value_kind:     hidden_global_offset_x
      - .offset:         192
        .size:           8
        .value_kind:     hidden_global_offset_y
      - .offset:         200
        .size:           8
        .value_kind:     hidden_global_offset_z
      - .offset:         208
        .size:           2
        .value_kind:     hidden_grid_dims
    .group_segment_fixed_size: 0
    .kernarg_segment_align: 8
    .kernarg_segment_size: 400
    .language:       OpenCL C
    .language_version:
      - 2
      - 0
    .max_flat_workgroup_size: 1024
    .name:           _ZN9rocsolver6v33100L11gemm_kernelI19rocblas_complex_numIfEiPKS3_PKPS3_S6_S6_EEvT0_S9_S9_T1_bT2_lS9_S9_lbT3_lS9_S9_lSA_T4_lS9_S9_l
    .private_segment_fixed_size: 0
    .sgpr_count:     31
    .sgpr_spill_count: 0
    .symbol:         _ZN9rocsolver6v33100L11gemm_kernelI19rocblas_complex_numIfEiPKS3_PKPS3_S6_S6_EEvT0_S9_S9_T1_bT2_lS9_S9_lbT3_lS9_S9_lSA_T4_lS9_S9_l.kd
    .uniform_work_group_size: 1
    .uses_dynamic_stack: false
    .vgpr_count:     17
    .vgpr_spill_count: 0
    .wavefront_size: 32
  - .args:
      - .offset:         0
        .size:           4
        .value_kind:     by_value
      - .offset:         4
        .size:           4
        .value_kind:     by_value
      - .offset:         8
        .size:           4
        .value_kind:     by_value
      - .offset:         12
        .size:           8
        .value_kind:     by_value
      - .offset:         20
        .size:           1
        .value_kind:     by_value
      - .address_space:  global
        .offset:         24
        .size:           8
        .value_kind:     global_buffer
      - .offset:         32
        .size:           8
        .value_kind:     by_value
      - .offset:         40
        .size:           4
        .value_kind:     by_value
      - .offset:         44
        .size:           4
        .value_kind:     by_value
      - .offset:         48
        .size:           8
        .value_kind:     by_value
      - .offset:         56
        .size:           1
        .value_kind:     by_value
      - .address_space:  global
        .offset:         64
        .size:           8
        .value_kind:     global_buffer
      - .offset:         72
        .size:           8
        .value_kind:     by_value
      - .offset:         80
        .size:           4
        .value_kind:     by_value
      - .offset:         84
        .size:           4
        .value_kind:     by_value
      - .offset:         88
        .size:           8
        .value_kind:     by_value
      - .offset:         96
        .size:           8
        .value_kind:     by_value
      - .address_space:  global
        .offset:         104
        .size:           8
        .value_kind:     global_buffer
      - .offset:         112
        .size:           8
        .value_kind:     by_value
      - .offset:         120
        .size:           4
        .value_kind:     by_value
      - .offset:         124
        .size:           4
        .value_kind:     by_value
      - .offset:         128
        .size:           8
        .value_kind:     by_value
      - .offset:         136
        .size:           4
        .value_kind:     hidden_block_count_x
      - .offset:         140
        .size:           4
        .value_kind:     hidden_block_count_y
      - .offset:         144
        .size:           4
        .value_kind:     hidden_block_count_z
      - .offset:         148
        .size:           2
        .value_kind:     hidden_group_size_x
      - .offset:         150
        .size:           2
        .value_kind:     hidden_group_size_y
      - .offset:         152
        .size:           2
        .value_kind:     hidden_group_size_z
      - .offset:         154
        .size:           2
        .value_kind:     hidden_remainder_x
      - .offset:         156
        .size:           2
        .value_kind:     hidden_remainder_y
      - .offset:         158
        .size:           2
        .value_kind:     hidden_remainder_z
      - .offset:         176
        .size:           8
        .value_kind:     hidden_global_offset_x
      - .offset:         184
        .size:           8
        .value_kind:     hidden_global_offset_y
      - .offset:         192
        .size:           8
        .value_kind:     hidden_global_offset_z
      - .offset:         200
        .size:           2
        .value_kind:     hidden_grid_dims
    .group_segment_fixed_size: 0
    .kernarg_segment_align: 8
    .kernarg_segment_size: 392
    .language:       OpenCL C
    .language_version:
      - 2
      - 0
    .max_flat_workgroup_size: 1024
    .name:           _ZN9rocsolver6v33100L11gemm_kernelI19rocblas_complex_numIfEiS3_PKPS3_S4_S4_EEvT0_S7_S7_T1_bT2_lS7_S7_lbT3_lS7_S7_lS8_T4_lS7_S7_l
    .private_segment_fixed_size: 0
    .sgpr_count:     27
    .sgpr_spill_count: 0
    .symbol:         _ZN9rocsolver6v33100L11gemm_kernelI19rocblas_complex_numIfEiS3_PKPS3_S4_S4_EEvT0_S7_S7_T1_bT2_lS7_S7_lbT3_lS7_S7_lS8_T4_lS7_S7_l.kd
    .uniform_work_group_size: 1
    .uses_dynamic_stack: false
    .vgpr_count:     17
    .vgpr_spill_count: 0
    .wavefront_size: 32
  - .args:
      - .offset:         0
        .size:           4
        .value_kind:     by_value
      - .offset:         4
        .size:           4
        .value_kind:     by_value
      - .offset:         8
        .size:           4
        .value_kind:     by_value
      - .offset:         12
        .size:           4
        .value_kind:     by_value
      - .offset:         16
        .size:           4
        .value_kind:     by_value
      - .address_space:  global
        .offset:         24
        .size:           8
        .value_kind:     global_buffer
      - .address_space:  global
        .offset:         32
        .size:           8
        .value_kind:     global_buffer
      - .offset:         40
        .size:           8
        .value_kind:     by_value
      - .offset:         48
        .size:           4
        .value_kind:     by_value
      - .offset:         52
        .size:           4
        .value_kind:     by_value
      - .offset:         56
        .size:           8
        .value_kind:     by_value
      - .address_space:  global
        .offset:         64
        .size:           8
        .value_kind:     global_buffer
      - .offset:         72
        .size:           8
        .value_kind:     by_value
      - .offset:         80
        .size:           4
        .value_kind:     by_value
      - .offset:         84
        .size:           4
        .value_kind:     by_value
      - .offset:         88
        .size:           8
        .value_kind:     by_value
      - .address_space:  global
        .offset:         96
        .size:           8
        .value_kind:     global_buffer
      - .address_space:  global
        .offset:         104
        .size:           8
        .value_kind:     global_buffer
      - .offset:         112
        .size:           8
        .value_kind:     by_value
      - .offset:         120
        .size:           4
        .value_kind:     by_value
      - .offset:         124
        .size:           4
        .value_kind:     by_value
      - .offset:         128
        .size:           8
        .value_kind:     by_value
    .group_segment_fixed_size: 0
    .kernarg_segment_align: 8
    .kernarg_segment_size: 136
    .language:       OpenCL C
    .language_version:
      - 2
      - 0
    .max_flat_workgroup_size: 1024
    .name:           _ZN9rocsolver6v33100L16mfma_gemm_kernelI19rocblas_complex_numIfEiPKS3_PS3_PKS6_S6_EEv18rocblas_operation_S9_T0_SA_SA_T1_T2_lSA_SA_lT3_lSA_SA_lSB_T4_lSA_SA_l
    .private_segment_fixed_size: 0
    .sgpr_count:     0
    .sgpr_spill_count: 0
    .symbol:         _ZN9rocsolver6v33100L16mfma_gemm_kernelI19rocblas_complex_numIfEiPKS3_PS3_PKS6_S6_EEv18rocblas_operation_S9_T0_SA_SA_T1_T2_lSA_SA_lT3_lSA_SA_lSB_T4_lSA_SA_l.kd
    .uniform_work_group_size: 1
    .uses_dynamic_stack: false
    .vgpr_count:     0
    .vgpr_spill_count: 0
    .wavefront_size: 32
  - .args:
      - .offset:         0
        .size:           4
        .value_kind:     by_value
      - .offset:         4
        .size:           4
        .value_kind:     by_value
      - .offset:         8
        .size:           4
        .value_kind:     by_value
      - .offset:         12
        .size:           4
        .value_kind:     by_value
      - .offset:         16
        .size:           4
        .value_kind:     by_value
      - .offset:         20
        .size:           8
        .value_kind:     by_value
      - .address_space:  global
        .offset:         32
        .size:           8
        .value_kind:     global_buffer
      - .offset:         40
        .size:           8
        .value_kind:     by_value
      - .offset:         48
        .size:           4
        .value_kind:     by_value
      - .offset:         52
        .size:           4
        .value_kind:     by_value
      - .offset:         56
        .size:           8
        .value_kind:     by_value
      - .address_space:  global
        .offset:         64
        .size:           8
        .value_kind:     global_buffer
      - .offset:         72
        .size:           8
        .value_kind:     by_value
      - .offset:         80
        .size:           4
        .value_kind:     by_value
      - .offset:         84
        .size:           4
        .value_kind:     by_value
      - .offset:         88
        .size:           8
        .value_kind:     by_value
      - .offset:         96
        .size:           8
        .value_kind:     by_value
      - .address_space:  global
        .offset:         104
        .size:           8
        .value_kind:     global_buffer
      - .offset:         112
        .size:           8
        .value_kind:     by_value
      - .offset:         120
        .size:           4
        .value_kind:     by_value
      - .offset:         124
        .size:           4
        .value_kind:     by_value
      - .offset:         128
        .size:           8
        .value_kind:     by_value
    .group_segment_fixed_size: 0
    .kernarg_segment_align: 8
    .kernarg_segment_size: 136
    .language:       OpenCL C
    .language_version:
      - 2
      - 0
    .max_flat_workgroup_size: 1024
    .name:           _ZN9rocsolver6v33100L16mfma_gemm_kernelI19rocblas_complex_numIfEiS3_PS3_PKS4_S4_EEv18rocblas_operation_S7_T0_S8_S8_T1_T2_lS8_S8_lT3_lS8_S8_lS9_T4_lS8_S8_l
    .private_segment_fixed_size: 0
    .sgpr_count:     0
    .sgpr_spill_count: 0
    .symbol:         _ZN9rocsolver6v33100L16mfma_gemm_kernelI19rocblas_complex_numIfEiS3_PS3_PKS4_S4_EEv18rocblas_operation_S7_T0_S8_S8_T1_T2_lS8_S8_lT3_lS8_S8_lS9_T4_lS8_S8_l.kd
    .uniform_work_group_size: 1
    .uses_dynamic_stack: false
    .vgpr_count:     0
    .vgpr_spill_count: 0
    .wavefront_size: 32
  - .args:
      - .offset:         0
        .size:           4
        .value_kind:     by_value
      - .offset:         4
        .size:           4
        .value_kind:     by_value
      - .offset:         8
        .size:           4
        .value_kind:     by_value
      - .address_space:  global
        .offset:         16
        .size:           8
        .value_kind:     global_buffer
      - .offset:         24
        .size:           1
        .value_kind:     by_value
      - .address_space:  global
        .offset:         32
        .size:           8
        .value_kind:     global_buffer
      - .offset:         40
        .size:           8
        .value_kind:     by_value
      - .offset:         48
        .size:           4
        .value_kind:     by_value
      - .offset:         52
        .size:           4
        .value_kind:     by_value
      - .offset:         56
        .size:           8
        .value_kind:     by_value
      - .offset:         64
        .size:           1
        .value_kind:     by_value
      - .address_space:  global
        .offset:         72
        .size:           8
        .value_kind:     global_buffer
      - .offset:         80
        .size:           8
        .value_kind:     by_value
      - .offset:         88
        .size:           4
        .value_kind:     by_value
      - .offset:         92
        .size:           4
        .value_kind:     by_value
      - .offset:         96
        .size:           8
        .value_kind:     by_value
      - .address_space:  global
        .offset:         104
        .size:           8
        .value_kind:     global_buffer
      - .address_space:  global
        .offset:         112
        .size:           8
        .value_kind:     global_buffer
      - .offset:         120
        .size:           8
        .value_kind:     by_value
      - .offset:         128
        .size:           4
        .value_kind:     by_value
      - .offset:         132
        .size:           4
        .value_kind:     by_value
      - .offset:         136
        .size:           8
        .value_kind:     by_value
      - .offset:         144
        .size:           4
        .value_kind:     hidden_block_count_x
      - .offset:         148
        .size:           4
        .value_kind:     hidden_block_count_y
      - .offset:         152
        .size:           4
        .value_kind:     hidden_block_count_z
      - .offset:         156
        .size:           2
        .value_kind:     hidden_group_size_x
      - .offset:         158
        .size:           2
        .value_kind:     hidden_group_size_y
      - .offset:         160
        .size:           2
        .value_kind:     hidden_group_size_z
      - .offset:         162
        .size:           2
        .value_kind:     hidden_remainder_x
      - .offset:         164
        .size:           2
        .value_kind:     hidden_remainder_y
      - .offset:         166
        .size:           2
        .value_kind:     hidden_remainder_z
      - .offset:         184
        .size:           8
        .value_kind:     hidden_global_offset_x
      - .offset:         192
        .size:           8
        .value_kind:     hidden_global_offset_y
      - .offset:         200
        .size:           8
        .value_kind:     hidden_global_offset_z
      - .offset:         208
        .size:           2
        .value_kind:     hidden_grid_dims
    .group_segment_fixed_size: 0
    .kernarg_segment_align: 8
    .kernarg_segment_size: 400
    .language:       OpenCL C
    .language_version:
      - 2
      - 0
    .max_flat_workgroup_size: 1024
    .name:           _ZN9rocsolver6v33100L11gemm_kernelI19rocblas_complex_numIfEiPKS3_PS3_PKS6_S6_EEvT0_S9_S9_T1_bT2_lS9_S9_lbT3_lS9_S9_lSA_T4_lS9_S9_l
    .private_segment_fixed_size: 0
    .sgpr_count:     33
    .sgpr_spill_count: 0
    .symbol:         _ZN9rocsolver6v33100L11gemm_kernelI19rocblas_complex_numIfEiPKS3_PS3_PKS6_S6_EEvT0_S9_S9_T1_bT2_lS9_S9_lbT3_lS9_S9_lSA_T4_lS9_S9_l.kd
    .uniform_work_group_size: 1
    .uses_dynamic_stack: false
    .vgpr_count:     17
    .vgpr_spill_count: 0
    .wavefront_size: 32
  - .args:
      - .offset:         0
        .size:           4
        .value_kind:     by_value
      - .offset:         4
        .size:           4
        .value_kind:     by_value
      - .offset:         8
        .size:           4
        .value_kind:     by_value
      - .offset:         12
        .size:           8
        .value_kind:     by_value
      - .offset:         20
        .size:           1
        .value_kind:     by_value
      - .address_space:  global
        .offset:         24
        .size:           8
        .value_kind:     global_buffer
      - .offset:         32
        .size:           8
        .value_kind:     by_value
      - .offset:         40
        .size:           4
        .value_kind:     by_value
      - .offset:         44
        .size:           4
        .value_kind:     by_value
      - .offset:         48
        .size:           8
        .value_kind:     by_value
      - .offset:         56
        .size:           1
        .value_kind:     by_value
      - .address_space:  global
        .offset:         64
        .size:           8
        .value_kind:     global_buffer
      - .offset:         72
        .size:           8
        .value_kind:     by_value
      - .offset:         80
        .size:           4
        .value_kind:     by_value
      - .offset:         84
        .size:           4
        .value_kind:     by_value
      - .offset:         88
        .size:           8
        .value_kind:     by_value
      - .offset:         96
        .size:           8
        .value_kind:     by_value
      - .address_space:  global
        .offset:         104
        .size:           8
        .value_kind:     global_buffer
      - .offset:         112
        .size:           8
        .value_kind:     by_value
      - .offset:         120
        .size:           4
        .value_kind:     by_value
      - .offset:         124
        .size:           4
        .value_kind:     by_value
      - .offset:         128
        .size:           8
        .value_kind:     by_value
      - .offset:         136
        .size:           4
        .value_kind:     hidden_block_count_x
      - .offset:         140
        .size:           4
        .value_kind:     hidden_block_count_y
      - .offset:         144
        .size:           4
        .value_kind:     hidden_block_count_z
      - .offset:         148
        .size:           2
        .value_kind:     hidden_group_size_x
      - .offset:         150
        .size:           2
        .value_kind:     hidden_group_size_y
      - .offset:         152
        .size:           2
        .value_kind:     hidden_group_size_z
      - .offset:         154
        .size:           2
        .value_kind:     hidden_remainder_x
      - .offset:         156
        .size:           2
        .value_kind:     hidden_remainder_y
      - .offset:         158
        .size:           2
        .value_kind:     hidden_remainder_z
      - .offset:         176
        .size:           8
        .value_kind:     hidden_global_offset_x
      - .offset:         184
        .size:           8
        .value_kind:     hidden_global_offset_y
      - .offset:         192
        .size:           8
        .value_kind:     hidden_global_offset_z
      - .offset:         200
        .size:           2
        .value_kind:     hidden_grid_dims
    .group_segment_fixed_size: 0
    .kernarg_segment_align: 8
    .kernarg_segment_size: 392
    .language:       OpenCL C
    .language_version:
      - 2
      - 0
    .max_flat_workgroup_size: 1024
    .name:           _ZN9rocsolver6v33100L11gemm_kernelI19rocblas_complex_numIfEiS3_PS3_PKS4_S4_EEvT0_S7_S7_T1_bT2_lS7_S7_lbT3_lS7_S7_lS8_T4_lS7_S7_l
    .private_segment_fixed_size: 0
    .sgpr_count:     29
    .sgpr_spill_count: 0
    .symbol:         _ZN9rocsolver6v33100L11gemm_kernelI19rocblas_complex_numIfEiS3_PS3_PKS4_S4_EEvT0_S7_S7_T1_bT2_lS7_S7_lbT3_lS7_S7_lS8_T4_lS7_S7_l.kd
    .uniform_work_group_size: 1
    .uses_dynamic_stack: false
    .vgpr_count:     17
    .vgpr_spill_count: 0
    .wavefront_size: 32
  - .args:
      - .offset:         0
        .size:           4
        .value_kind:     by_value
      - .offset:         4
        .size:           4
        .value_kind:     by_value
      - .offset:         8
        .size:           4
        .value_kind:     by_value
      - .offset:         12
        .size:           4
        .value_kind:     by_value
      - .offset:         16
        .size:           4
        .value_kind:     by_value
      - .address_space:  global
        .offset:         24
        .size:           8
        .value_kind:     global_buffer
      - .address_space:  global
        .offset:         32
        .size:           8
        .value_kind:     global_buffer
      - .offset:         40
        .size:           8
        .value_kind:     by_value
      - .offset:         48
        .size:           4
        .value_kind:     by_value
      - .offset:         52
        .size:           4
        .value_kind:     by_value
      - .offset:         56
        .size:           8
        .value_kind:     by_value
      - .address_space:  global
        .offset:         64
        .size:           8
        .value_kind:     global_buffer
      - .offset:         72
        .size:           8
        .value_kind:     by_value
      - .offset:         80
        .size:           4
        .value_kind:     by_value
      - .offset:         84
        .size:           4
        .value_kind:     by_value
      - .offset:         88
        .size:           8
        .value_kind:     by_value
      - .address_space:  global
        .offset:         96
        .size:           8
        .value_kind:     global_buffer
      - .address_space:  global
        .offset:         104
        .size:           8
        .value_kind:     global_buffer
      - .offset:         112
        .size:           8
        .value_kind:     by_value
      - .offset:         120
        .size:           4
        .value_kind:     by_value
      - .offset:         124
        .size:           4
        .value_kind:     by_value
      - .offset:         128
        .size:           8
        .value_kind:     by_value
    .group_segment_fixed_size: 0
    .kernarg_segment_align: 8
    .kernarg_segment_size: 136
    .language:       OpenCL C
    .language_version:
      - 2
      - 0
    .max_flat_workgroup_size: 1024
    .name:           _ZN9rocsolver6v33100L16mfma_gemm_kernelI19rocblas_complex_numIfEiPKS3_PS3_S6_PKS6_EEv18rocblas_operation_S9_T0_SA_SA_T1_T2_lSA_SA_lT3_lSA_SA_lSB_T4_lSA_SA_l
    .private_segment_fixed_size: 0
    .sgpr_count:     0
    .sgpr_spill_count: 0
    .symbol:         _ZN9rocsolver6v33100L16mfma_gemm_kernelI19rocblas_complex_numIfEiPKS3_PS3_S6_PKS6_EEv18rocblas_operation_S9_T0_SA_SA_T1_T2_lSA_SA_lT3_lSA_SA_lSB_T4_lSA_SA_l.kd
    .uniform_work_group_size: 1
    .uses_dynamic_stack: false
    .vgpr_count:     0
    .vgpr_spill_count: 0
    .wavefront_size: 32
  - .args:
      - .offset:         0
        .size:           4
        .value_kind:     by_value
      - .offset:         4
        .size:           4
        .value_kind:     by_value
      - .offset:         8
        .size:           4
        .value_kind:     by_value
      - .offset:         12
        .size:           4
        .value_kind:     by_value
      - .offset:         16
        .size:           4
        .value_kind:     by_value
      - .offset:         20
        .size:           8
        .value_kind:     by_value
      - .address_space:  global
        .offset:         32
        .size:           8
        .value_kind:     global_buffer
      - .offset:         40
        .size:           8
        .value_kind:     by_value
      - .offset:         48
        .size:           4
        .value_kind:     by_value
      - .offset:         52
        .size:           4
        .value_kind:     by_value
      - .offset:         56
        .size:           8
        .value_kind:     by_value
      - .address_space:  global
        .offset:         64
        .size:           8
        .value_kind:     global_buffer
      - .offset:         72
        .size:           8
        .value_kind:     by_value
      - .offset:         80
        .size:           4
        .value_kind:     by_value
      - .offset:         84
        .size:           4
        .value_kind:     by_value
      - .offset:         88
        .size:           8
        .value_kind:     by_value
      - .offset:         96
        .size:           8
        .value_kind:     by_value
      - .address_space:  global
        .offset:         104
        .size:           8
        .value_kind:     global_buffer
      - .offset:         112
        .size:           8
        .value_kind:     by_value
      - .offset:         120
        .size:           4
        .value_kind:     by_value
      - .offset:         124
        .size:           4
        .value_kind:     by_value
      - .offset:         128
        .size:           8
        .value_kind:     by_value
    .group_segment_fixed_size: 0
    .kernarg_segment_align: 8
    .kernarg_segment_size: 136
    .language:       OpenCL C
    .language_version:
      - 2
      - 0
    .max_flat_workgroup_size: 1024
    .name:           _ZN9rocsolver6v33100L16mfma_gemm_kernelI19rocblas_complex_numIfEiS3_PS3_S4_PKS4_EEv18rocblas_operation_S7_T0_S8_S8_T1_T2_lS8_S8_lT3_lS8_S8_lS9_T4_lS8_S8_l
    .private_segment_fixed_size: 0
    .sgpr_count:     0
    .sgpr_spill_count: 0
    .symbol:         _ZN9rocsolver6v33100L16mfma_gemm_kernelI19rocblas_complex_numIfEiS3_PS3_S4_PKS4_EEv18rocblas_operation_S7_T0_S8_S8_T1_T2_lS8_S8_lT3_lS8_S8_lS9_T4_lS8_S8_l.kd
    .uniform_work_group_size: 1
    .uses_dynamic_stack: false
    .vgpr_count:     0
    .vgpr_spill_count: 0
    .wavefront_size: 32
  - .args:
      - .offset:         0
        .size:           4
        .value_kind:     by_value
      - .offset:         4
        .size:           4
        .value_kind:     by_value
      - .offset:         8
        .size:           4
        .value_kind:     by_value
      - .address_space:  global
        .offset:         16
        .size:           8
        .value_kind:     global_buffer
      - .offset:         24
        .size:           1
        .value_kind:     by_value
      - .address_space:  global
        .offset:         32
        .size:           8
        .value_kind:     global_buffer
      - .offset:         40
        .size:           8
        .value_kind:     by_value
      - .offset:         48
        .size:           4
        .value_kind:     by_value
      - .offset:         52
        .size:           4
        .value_kind:     by_value
      - .offset:         56
        .size:           8
        .value_kind:     by_value
      - .offset:         64
        .size:           1
        .value_kind:     by_value
      - .address_space:  global
        .offset:         72
        .size:           8
        .value_kind:     global_buffer
      - .offset:         80
        .size:           8
        .value_kind:     by_value
      - .offset:         88
        .size:           4
        .value_kind:     by_value
      - .offset:         92
        .size:           4
        .value_kind:     by_value
      - .offset:         96
        .size:           8
        .value_kind:     by_value
      - .address_space:  global
        .offset:         104
        .size:           8
        .value_kind:     global_buffer
      - .address_space:  global
        .offset:         112
        .size:           8
        .value_kind:     global_buffer
      - .offset:         120
        .size:           8
        .value_kind:     by_value
      - .offset:         128
        .size:           4
        .value_kind:     by_value
      - .offset:         132
        .size:           4
        .value_kind:     by_value
      - .offset:         136
        .size:           8
        .value_kind:     by_value
      - .offset:         144
        .size:           4
        .value_kind:     hidden_block_count_x
      - .offset:         148
        .size:           4
        .value_kind:     hidden_block_count_y
      - .offset:         152
        .size:           4
        .value_kind:     hidden_block_count_z
      - .offset:         156
        .size:           2
        .value_kind:     hidden_group_size_x
      - .offset:         158
        .size:           2
        .value_kind:     hidden_group_size_y
      - .offset:         160
        .size:           2
        .value_kind:     hidden_group_size_z
      - .offset:         162
        .size:           2
        .value_kind:     hidden_remainder_x
      - .offset:         164
        .size:           2
        .value_kind:     hidden_remainder_y
      - .offset:         166
        .size:           2
        .value_kind:     hidden_remainder_z
      - .offset:         184
        .size:           8
        .value_kind:     hidden_global_offset_x
      - .offset:         192
        .size:           8
        .value_kind:     hidden_global_offset_y
      - .offset:         200
        .size:           8
        .value_kind:     hidden_global_offset_z
      - .offset:         208
        .size:           2
        .value_kind:     hidden_grid_dims
    .group_segment_fixed_size: 0
    .kernarg_segment_align: 8
    .kernarg_segment_size: 400
    .language:       OpenCL C
    .language_version:
      - 2
      - 0
    .max_flat_workgroup_size: 1024
    .name:           _ZN9rocsolver6v33100L11gemm_kernelI19rocblas_complex_numIfEiPKS3_PS3_S6_PKS6_EEvT0_S9_S9_T1_bT2_lS9_S9_lbT3_lS9_S9_lSA_T4_lS9_S9_l
    .private_segment_fixed_size: 0
    .sgpr_count:     34
    .sgpr_spill_count: 0
    .symbol:         _ZN9rocsolver6v33100L11gemm_kernelI19rocblas_complex_numIfEiPKS3_PS3_S6_PKS6_EEvT0_S9_S9_T1_bT2_lS9_S9_lbT3_lS9_S9_lSA_T4_lS9_S9_l.kd
    .uniform_work_group_size: 1
    .uses_dynamic_stack: false
    .vgpr_count:     17
    .vgpr_spill_count: 0
    .wavefront_size: 32
  - .args:
      - .offset:         0
        .size:           4
        .value_kind:     by_value
      - .offset:         4
        .size:           4
        .value_kind:     by_value
      - .offset:         8
        .size:           4
        .value_kind:     by_value
      - .offset:         12
        .size:           8
        .value_kind:     by_value
      - .offset:         20
        .size:           1
        .value_kind:     by_value
      - .address_space:  global
        .offset:         24
        .size:           8
        .value_kind:     global_buffer
      - .offset:         32
        .size:           8
        .value_kind:     by_value
      - .offset:         40
        .size:           4
        .value_kind:     by_value
      - .offset:         44
        .size:           4
        .value_kind:     by_value
      - .offset:         48
        .size:           8
        .value_kind:     by_value
      - .offset:         56
        .size:           1
        .value_kind:     by_value
      - .address_space:  global
        .offset:         64
        .size:           8
        .value_kind:     global_buffer
      - .offset:         72
        .size:           8
        .value_kind:     by_value
      - .offset:         80
        .size:           4
        .value_kind:     by_value
      - .offset:         84
        .size:           4
        .value_kind:     by_value
      - .offset:         88
        .size:           8
        .value_kind:     by_value
      - .offset:         96
        .size:           8
        .value_kind:     by_value
      - .address_space:  global
        .offset:         104
        .size:           8
        .value_kind:     global_buffer
      - .offset:         112
        .size:           8
        .value_kind:     by_value
      - .offset:         120
        .size:           4
        .value_kind:     by_value
      - .offset:         124
        .size:           4
        .value_kind:     by_value
      - .offset:         128
        .size:           8
        .value_kind:     by_value
      - .offset:         136
        .size:           4
        .value_kind:     hidden_block_count_x
      - .offset:         140
        .size:           4
        .value_kind:     hidden_block_count_y
      - .offset:         144
        .size:           4
        .value_kind:     hidden_block_count_z
      - .offset:         148
        .size:           2
        .value_kind:     hidden_group_size_x
      - .offset:         150
        .size:           2
        .value_kind:     hidden_group_size_y
      - .offset:         152
        .size:           2
        .value_kind:     hidden_group_size_z
      - .offset:         154
        .size:           2
        .value_kind:     hidden_remainder_x
      - .offset:         156
        .size:           2
        .value_kind:     hidden_remainder_y
      - .offset:         158
        .size:           2
        .value_kind:     hidden_remainder_z
      - .offset:         176
        .size:           8
        .value_kind:     hidden_global_offset_x
      - .offset:         184
        .size:           8
        .value_kind:     hidden_global_offset_y
      - .offset:         192
        .size:           8
        .value_kind:     hidden_global_offset_z
      - .offset:         200
        .size:           2
        .value_kind:     hidden_grid_dims
    .group_segment_fixed_size: 0
    .kernarg_segment_align: 8
    .kernarg_segment_size: 392
    .language:       OpenCL C
    .language_version:
      - 2
      - 0
    .max_flat_workgroup_size: 1024
    .name:           _ZN9rocsolver6v33100L11gemm_kernelI19rocblas_complex_numIfEiS3_PS3_S4_PKS4_EEvT0_S7_S7_T1_bT2_lS7_S7_lbT3_lS7_S7_lS8_T4_lS7_S7_l
    .private_segment_fixed_size: 0
    .sgpr_count:     33
    .sgpr_spill_count: 0
    .symbol:         _ZN9rocsolver6v33100L11gemm_kernelI19rocblas_complex_numIfEiS3_PS3_S4_PKS4_EEvT0_S7_S7_T1_bT2_lS7_S7_lbT3_lS7_S7_lS8_T4_lS7_S7_l.kd
    .uniform_work_group_size: 1
    .uses_dynamic_stack: false
    .vgpr_count:     17
    .vgpr_spill_count: 0
    .wavefront_size: 32
  - .args:
      - .offset:         0
        .size:           4
        .value_kind:     by_value
      - .offset:         4
        .size:           4
        .value_kind:     by_value
      - .offset:         8
        .size:           8
        .value_kind:     by_value
      - .offset:         16
        .size:           8
        .value_kind:     by_value
      - .offset:         24
        .size:           8
        .value_kind:     by_value
      - .address_space:  global
        .offset:         32
        .size:           8
        .value_kind:     global_buffer
      - .address_space:  global
        .offset:         40
        .size:           8
        .value_kind:     global_buffer
      - .offset:         48
        .size:           8
        .value_kind:     by_value
      - .offset:         56
        .size:           8
        .value_kind:     by_value
      - .offset:         64
        .size:           8
        .value_kind:     by_value
      - .offset:         72
        .size:           8
        .value_kind:     by_value
      - .address_space:  global
        .offset:         80
        .size:           8
        .value_kind:     global_buffer
      - .offset:         88
        .size:           8
        .value_kind:     by_value
      - .offset:         96
        .size:           8
        .value_kind:     by_value
      - .offset:         104
        .size:           8
        .value_kind:     by_value
      - .offset:         112
        .size:           8
        .value_kind:     by_value
      - .address_space:  global
        .offset:         120
        .size:           8
        .value_kind:     global_buffer
      - .address_space:  global
        .offset:         128
        .size:           8
        .value_kind:     global_buffer
      - .offset:         136
        .size:           8
        .value_kind:     by_value
      - .offset:         144
        .size:           8
        .value_kind:     by_value
      - .offset:         152
        .size:           8
        .value_kind:     by_value
      - .offset:         160
        .size:           8
        .value_kind:     by_value
    .group_segment_fixed_size: 0
    .kernarg_segment_align: 8
    .kernarg_segment_size: 168
    .language:       OpenCL C
    .language_version:
      - 2
      - 0
    .max_flat_workgroup_size: 1024
    .name:           _ZN9rocsolver6v33100L16mfma_gemm_kernelI19rocblas_complex_numIfElPKS3_PS3_S6_S6_EEv18rocblas_operation_S7_T0_S8_S8_T1_T2_lS8_S8_lT3_lS8_S8_lS9_T4_lS8_S8_l
    .private_segment_fixed_size: 0
    .sgpr_count:     0
    .sgpr_spill_count: 0
    .symbol:         _ZN9rocsolver6v33100L16mfma_gemm_kernelI19rocblas_complex_numIfElPKS3_PS3_S6_S6_EEv18rocblas_operation_S7_T0_S8_S8_T1_T2_lS8_S8_lT3_lS8_S8_lS9_T4_lS8_S8_l.kd
    .uniform_work_group_size: 1
    .uses_dynamic_stack: false
    .vgpr_count:     0
    .vgpr_spill_count: 0
    .wavefront_size: 32
  - .args:
      - .offset:         0
        .size:           4
        .value_kind:     by_value
      - .offset:         4
        .size:           4
        .value_kind:     by_value
      - .offset:         8
        .size:           8
        .value_kind:     by_value
      - .offset:         16
        .size:           8
        .value_kind:     by_value
      - .offset:         24
        .size:           8
        .value_kind:     by_value
      - .offset:         32
        .size:           8
        .value_kind:     by_value
      - .address_space:  global
        .offset:         40
        .size:           8
        .value_kind:     global_buffer
      - .offset:         48
        .size:           8
        .value_kind:     by_value
      - .offset:         56
        .size:           8
        .value_kind:     by_value
      - .offset:         64
        .size:           8
        .value_kind:     by_value
      - .offset:         72
        .size:           8
        .value_kind:     by_value
      - .address_space:  global
        .offset:         80
        .size:           8
        .value_kind:     global_buffer
      - .offset:         88
        .size:           8
        .value_kind:     by_value
      - .offset:         96
        .size:           8
        .value_kind:     by_value
      - .offset:         104
        .size:           8
        .value_kind:     by_value
      - .offset:         112
        .size:           8
        .value_kind:     by_value
      - .offset:         120
        .size:           8
        .value_kind:     by_value
      - .address_space:  global
        .offset:         128
        .size:           8
        .value_kind:     global_buffer
      - .offset:         136
        .size:           8
        .value_kind:     by_value
      - .offset:         144
        .size:           8
        .value_kind:     by_value
      - .offset:         152
        .size:           8
        .value_kind:     by_value
      - .offset:         160
        .size:           8
        .value_kind:     by_value
    .group_segment_fixed_size: 0
    .kernarg_segment_align: 8
    .kernarg_segment_size: 168
    .language:       OpenCL C
    .language_version:
      - 2
      - 0
    .max_flat_workgroup_size: 1024
    .name:           _ZN9rocsolver6v33100L16mfma_gemm_kernelI19rocblas_complex_numIfElS3_PS3_S4_S4_EEv18rocblas_operation_S5_T0_S6_S6_T1_T2_lS6_S6_lT3_lS6_S6_lS7_T4_lS6_S6_l
    .private_segment_fixed_size: 0
    .sgpr_count:     0
    .sgpr_spill_count: 0
    .symbol:         _ZN9rocsolver6v33100L16mfma_gemm_kernelI19rocblas_complex_numIfElS3_PS3_S4_S4_EEv18rocblas_operation_S5_T0_S6_S6_T1_T2_lS6_S6_lT3_lS6_S6_lS7_T4_lS6_S6_l.kd
    .uniform_work_group_size: 1
    .uses_dynamic_stack: false
    .vgpr_count:     0
    .vgpr_spill_count: 0
    .wavefront_size: 32
  - .args:
      - .offset:         0
        .size:           8
        .value_kind:     by_value
      - .offset:         8
        .size:           8
        .value_kind:     by_value
      - .offset:         16
        .size:           8
        .value_kind:     by_value
      - .address_space:  global
        .offset:         24
        .size:           8
        .value_kind:     global_buffer
      - .offset:         32
        .size:           1
        .value_kind:     by_value
      - .address_space:  global
        .offset:         40
        .size:           8
        .value_kind:     global_buffer
      - .offset:         48
        .size:           8
        .value_kind:     by_value
      - .offset:         56
        .size:           8
        .value_kind:     by_value
      - .offset:         64
        .size:           8
        .value_kind:     by_value
      - .offset:         72
        .size:           8
        .value_kind:     by_value
      - .offset:         80
        .size:           1
        .value_kind:     by_value
      - .address_space:  global
        .offset:         88
        .size:           8
        .value_kind:     global_buffer
      - .offset:         96
        .size:           8
        .value_kind:     by_value
      - .offset:         104
        .size:           8
        .value_kind:     by_value
      - .offset:         112
        .size:           8
        .value_kind:     by_value
      - .offset:         120
        .size:           8
        .value_kind:     by_value
      - .address_space:  global
        .offset:         128
        .size:           8
        .value_kind:     global_buffer
      - .address_space:  global
        .offset:         136
        .size:           8
        .value_kind:     global_buffer
      - .offset:         144
        .size:           8
        .value_kind:     by_value
      - .offset:         152
        .size:           8
        .value_kind:     by_value
      - .offset:         160
        .size:           8
        .value_kind:     by_value
      - .offset:         168
        .size:           8
        .value_kind:     by_value
      - .offset:         176
        .size:           4
        .value_kind:     hidden_block_count_x
      - .offset:         180
        .size:           4
        .value_kind:     hidden_block_count_y
      - .offset:         184
        .size:           4
        .value_kind:     hidden_block_count_z
      - .offset:         188
        .size:           2
        .value_kind:     hidden_group_size_x
      - .offset:         190
        .size:           2
        .value_kind:     hidden_group_size_y
      - .offset:         192
        .size:           2
        .value_kind:     hidden_group_size_z
      - .offset:         194
        .size:           2
        .value_kind:     hidden_remainder_x
      - .offset:         196
        .size:           2
        .value_kind:     hidden_remainder_y
      - .offset:         198
        .size:           2
        .value_kind:     hidden_remainder_z
      - .offset:         216
        .size:           8
        .value_kind:     hidden_global_offset_x
      - .offset:         224
        .size:           8
        .value_kind:     hidden_global_offset_y
      - .offset:         232
        .size:           8
        .value_kind:     hidden_global_offset_z
      - .offset:         240
        .size:           2
        .value_kind:     hidden_grid_dims
    .group_segment_fixed_size: 0
    .kernarg_segment_align: 8
    .kernarg_segment_size: 432
    .language:       OpenCL C
    .language_version:
      - 2
      - 0
    .max_flat_workgroup_size: 1024
    .name:           _ZN9rocsolver6v33100L11gemm_kernelI19rocblas_complex_numIfElPKS3_PS3_S6_S6_EEvT0_S7_S7_T1_bT2_lS7_S7_lbT3_lS7_S7_lS8_T4_lS7_S7_l
    .private_segment_fixed_size: 0
    .sgpr_count:     41
    .sgpr_spill_count: 0
    .symbol:         _ZN9rocsolver6v33100L11gemm_kernelI19rocblas_complex_numIfElPKS3_PS3_S6_S6_EEvT0_S7_S7_T1_bT2_lS7_S7_lbT3_lS7_S7_lS8_T4_lS7_S7_l.kd
    .uniform_work_group_size: 1
    .uses_dynamic_stack: false
    .vgpr_count:     18
    .vgpr_spill_count: 0
    .wavefront_size: 32
  - .args:
      - .offset:         0
        .size:           8
        .value_kind:     by_value
      - .offset:         8
        .size:           8
        .value_kind:     by_value
      - .offset:         16
        .size:           8
        .value_kind:     by_value
      - .offset:         24
        .size:           8
        .value_kind:     by_value
      - .offset:         32
        .size:           1
        .value_kind:     by_value
      - .address_space:  global
        .offset:         40
        .size:           8
        .value_kind:     global_buffer
      - .offset:         48
        .size:           8
        .value_kind:     by_value
      - .offset:         56
        .size:           8
        .value_kind:     by_value
      - .offset:         64
        .size:           8
        .value_kind:     by_value
      - .offset:         72
        .size:           8
        .value_kind:     by_value
      - .offset:         80
        .size:           1
        .value_kind:     by_value
      - .address_space:  global
        .offset:         88
        .size:           8
        .value_kind:     global_buffer
      - .offset:         96
        .size:           8
        .value_kind:     by_value
      - .offset:         104
        .size:           8
        .value_kind:     by_value
      - .offset:         112
        .size:           8
        .value_kind:     by_value
      - .offset:         120
        .size:           8
        .value_kind:     by_value
      - .offset:         128
        .size:           8
        .value_kind:     by_value
      - .address_space:  global
        .offset:         136
        .size:           8
        .value_kind:     global_buffer
      - .offset:         144
        .size:           8
        .value_kind:     by_value
      - .offset:         152
        .size:           8
        .value_kind:     by_value
      - .offset:         160
        .size:           8
        .value_kind:     by_value
      - .offset:         168
        .size:           8
        .value_kind:     by_value
      - .offset:         176
        .size:           4
        .value_kind:     hidden_block_count_x
      - .offset:         180
        .size:           4
        .value_kind:     hidden_block_count_y
      - .offset:         184
        .size:           4
        .value_kind:     hidden_block_count_z
      - .offset:         188
        .size:           2
        .value_kind:     hidden_group_size_x
      - .offset:         190
        .size:           2
        .value_kind:     hidden_group_size_y
      - .offset:         192
        .size:           2
        .value_kind:     hidden_group_size_z
      - .offset:         194
        .size:           2
        .value_kind:     hidden_remainder_x
      - .offset:         196
        .size:           2
        .value_kind:     hidden_remainder_y
      - .offset:         198
        .size:           2
        .value_kind:     hidden_remainder_z
      - .offset:         216
        .size:           8
        .value_kind:     hidden_global_offset_x
      - .offset:         224
        .size:           8
        .value_kind:     hidden_global_offset_y
      - .offset:         232
        .size:           8
        .value_kind:     hidden_global_offset_z
      - .offset:         240
        .size:           2
        .value_kind:     hidden_grid_dims
    .group_segment_fixed_size: 0
    .kernarg_segment_align: 8
    .kernarg_segment_size: 432
    .language:       OpenCL C
    .language_version:
      - 2
      - 0
    .max_flat_workgroup_size: 1024
    .name:           _ZN9rocsolver6v33100L11gemm_kernelI19rocblas_complex_numIfElS3_PS3_S4_S4_EEvT0_S5_S5_T1_bT2_lS5_S5_lbT3_lS5_S5_lS6_T4_lS5_S5_l
    .private_segment_fixed_size: 0
    .sgpr_count:     33
    .sgpr_spill_count: 0
    .symbol:         _ZN9rocsolver6v33100L11gemm_kernelI19rocblas_complex_numIfElS3_PS3_S4_S4_EEvT0_S5_S5_T1_bT2_lS5_S5_lbT3_lS5_S5_lS6_T4_lS5_S5_l.kd
    .uniform_work_group_size: 1
    .uses_dynamic_stack: false
    .vgpr_count:     18
    .vgpr_spill_count: 0
    .wavefront_size: 32
  - .args:
      - .offset:         0
        .size:           4
        .value_kind:     by_value
      - .offset:         4
        .size:           4
        .value_kind:     by_value
      - .offset:         8
        .size:           8
        .value_kind:     by_value
      - .offset:         16
        .size:           8
        .value_kind:     by_value
      - .offset:         24
        .size:           8
        .value_kind:     by_value
      - .address_space:  global
        .offset:         32
        .size:           8
        .value_kind:     global_buffer
      - .address_space:  global
        .offset:         40
        .size:           8
        .value_kind:     global_buffer
      - .offset:         48
        .size:           8
        .value_kind:     by_value
      - .offset:         56
        .size:           8
        .value_kind:     by_value
      - .offset:         64
        .size:           8
        .value_kind:     by_value
      - .offset:         72
        .size:           8
        .value_kind:     by_value
      - .address_space:  global
        .offset:         80
        .size:           8
        .value_kind:     global_buffer
      - .offset:         88
        .size:           8
        .value_kind:     by_value
      - .offset:         96
        .size:           8
        .value_kind:     by_value
      - .offset:         104
        .size:           8
        .value_kind:     by_value
      - .offset:         112
        .size:           8
        .value_kind:     by_value
      - .address_space:  global
        .offset:         120
        .size:           8
        .value_kind:     global_buffer
      - .address_space:  global
        .offset:         128
        .size:           8
        .value_kind:     global_buffer
      - .offset:         136
        .size:           8
        .value_kind:     by_value
      - .offset:         144
        .size:           8
        .value_kind:     by_value
      - .offset:         152
        .size:           8
        .value_kind:     by_value
      - .offset:         160
        .size:           8
        .value_kind:     by_value
    .group_segment_fixed_size: 0
    .kernarg_segment_align: 8
    .kernarg_segment_size: 168
    .language:       OpenCL C
    .language_version:
      - 2
      - 0
    .max_flat_workgroup_size: 1024
    .name:           _ZN9rocsolver6v33100L16mfma_gemm_kernelI19rocblas_complex_numIfElPKS3_PKPS3_S8_S8_EEv18rocblas_operation_S9_T0_SA_SA_T1_T2_lSA_SA_lT3_lSA_SA_lSB_T4_lSA_SA_l
    .private_segment_fixed_size: 0
    .sgpr_count:     0
    .sgpr_spill_count: 0
    .symbol:         _ZN9rocsolver6v33100L16mfma_gemm_kernelI19rocblas_complex_numIfElPKS3_PKPS3_S8_S8_EEv18rocblas_operation_S9_T0_SA_SA_T1_T2_lSA_SA_lT3_lSA_SA_lSB_T4_lSA_SA_l.kd
    .uniform_work_group_size: 1
    .uses_dynamic_stack: false
    .vgpr_count:     0
    .vgpr_spill_count: 0
    .wavefront_size: 32
  - .args:
      - .offset:         0
        .size:           4
        .value_kind:     by_value
      - .offset:         4
        .size:           4
        .value_kind:     by_value
      - .offset:         8
        .size:           8
        .value_kind:     by_value
      - .offset:         16
        .size:           8
        .value_kind:     by_value
      - .offset:         24
        .size:           8
        .value_kind:     by_value
      - .offset:         32
        .size:           8
        .value_kind:     by_value
      - .address_space:  global
        .offset:         40
        .size:           8
        .value_kind:     global_buffer
      - .offset:         48
        .size:           8
        .value_kind:     by_value
      - .offset:         56
        .size:           8
        .value_kind:     by_value
      - .offset:         64
        .size:           8
        .value_kind:     by_value
      - .offset:         72
        .size:           8
        .value_kind:     by_value
      - .address_space:  global
        .offset:         80
        .size:           8
        .value_kind:     global_buffer
      - .offset:         88
        .size:           8
        .value_kind:     by_value
      - .offset:         96
        .size:           8
        .value_kind:     by_value
      - .offset:         104
        .size:           8
        .value_kind:     by_value
      - .offset:         112
        .size:           8
        .value_kind:     by_value
      - .offset:         120
        .size:           8
        .value_kind:     by_value
      - .address_space:  global
        .offset:         128
        .size:           8
        .value_kind:     global_buffer
      - .offset:         136
        .size:           8
        .value_kind:     by_value
      - .offset:         144
        .size:           8
        .value_kind:     by_value
      - .offset:         152
        .size:           8
        .value_kind:     by_value
      - .offset:         160
        .size:           8
        .value_kind:     by_value
    .group_segment_fixed_size: 0
    .kernarg_segment_align: 8
    .kernarg_segment_size: 168
    .language:       OpenCL C
    .language_version:
      - 2
      - 0
    .max_flat_workgroup_size: 1024
    .name:           _ZN9rocsolver6v33100L16mfma_gemm_kernelI19rocblas_complex_numIfElS3_PKPS3_S6_S6_EEv18rocblas_operation_S7_T0_S8_S8_T1_T2_lS8_S8_lT3_lS8_S8_lS9_T4_lS8_S8_l
    .private_segment_fixed_size: 0
    .sgpr_count:     0
    .sgpr_spill_count: 0
    .symbol:         _ZN9rocsolver6v33100L16mfma_gemm_kernelI19rocblas_complex_numIfElS3_PKPS3_S6_S6_EEv18rocblas_operation_S7_T0_S8_S8_T1_T2_lS8_S8_lT3_lS8_S8_lS9_T4_lS8_S8_l.kd
    .uniform_work_group_size: 1
    .uses_dynamic_stack: false
    .vgpr_count:     0
    .vgpr_spill_count: 0
    .wavefront_size: 32
  - .args:
      - .offset:         0
        .size:           8
        .value_kind:     by_value
      - .offset:         8
        .size:           8
        .value_kind:     by_value
      - .offset:         16
        .size:           8
        .value_kind:     by_value
      - .address_space:  global
        .offset:         24
        .size:           8
        .value_kind:     global_buffer
      - .offset:         32
        .size:           1
        .value_kind:     by_value
      - .address_space:  global
        .offset:         40
        .size:           8
        .value_kind:     global_buffer
      - .offset:         48
        .size:           8
        .value_kind:     by_value
      - .offset:         56
        .size:           8
        .value_kind:     by_value
      - .offset:         64
        .size:           8
        .value_kind:     by_value
      - .offset:         72
        .size:           8
        .value_kind:     by_value
      - .offset:         80
        .size:           1
        .value_kind:     by_value
      - .address_space:  global
        .offset:         88
        .size:           8
        .value_kind:     global_buffer
      - .offset:         96
        .size:           8
        .value_kind:     by_value
      - .offset:         104
        .size:           8
        .value_kind:     by_value
      - .offset:         112
        .size:           8
        .value_kind:     by_value
      - .offset:         120
        .size:           8
        .value_kind:     by_value
      - .address_space:  global
        .offset:         128
        .size:           8
        .value_kind:     global_buffer
      - .address_space:  global
        .offset:         136
        .size:           8
        .value_kind:     global_buffer
      - .offset:         144
        .size:           8
        .value_kind:     by_value
      - .offset:         152
        .size:           8
        .value_kind:     by_value
      - .offset:         160
        .size:           8
        .value_kind:     by_value
      - .offset:         168
        .size:           8
        .value_kind:     by_value
      - .offset:         176
        .size:           4
        .value_kind:     hidden_block_count_x
      - .offset:         180
        .size:           4
        .value_kind:     hidden_block_count_y
      - .offset:         184
        .size:           4
        .value_kind:     hidden_block_count_z
      - .offset:         188
        .size:           2
        .value_kind:     hidden_group_size_x
      - .offset:         190
        .size:           2
        .value_kind:     hidden_group_size_y
      - .offset:         192
        .size:           2
        .value_kind:     hidden_group_size_z
      - .offset:         194
        .size:           2
        .value_kind:     hidden_remainder_x
      - .offset:         196
        .size:           2
        .value_kind:     hidden_remainder_y
      - .offset:         198
        .size:           2
        .value_kind:     hidden_remainder_z
      - .offset:         216
        .size:           8
        .value_kind:     hidden_global_offset_x
      - .offset:         224
        .size:           8
        .value_kind:     hidden_global_offset_y
      - .offset:         232
        .size:           8
        .value_kind:     hidden_global_offset_z
      - .offset:         240
        .size:           2
        .value_kind:     hidden_grid_dims
    .group_segment_fixed_size: 0
    .kernarg_segment_align: 8
    .kernarg_segment_size: 432
    .language:       OpenCL C
    .language_version:
      - 2
      - 0
    .max_flat_workgroup_size: 1024
    .name:           _ZN9rocsolver6v33100L11gemm_kernelI19rocblas_complex_numIfElPKS3_PKPS3_S8_S8_EEvT0_S9_S9_T1_bT2_lS9_S9_lbT3_lS9_S9_lSA_T4_lS9_S9_l
    .private_segment_fixed_size: 0
    .sgpr_count:     46
    .sgpr_spill_count: 0
    .symbol:         _ZN9rocsolver6v33100L11gemm_kernelI19rocblas_complex_numIfElPKS3_PKPS3_S8_S8_EEvT0_S9_S9_T1_bT2_lS9_S9_lbT3_lS9_S9_lSA_T4_lS9_S9_l.kd
    .uniform_work_group_size: 1
    .uses_dynamic_stack: false
    .vgpr_count:     18
    .vgpr_spill_count: 0
    .wavefront_size: 32
  - .args:
      - .offset:         0
        .size:           8
        .value_kind:     by_value
      - .offset:         8
        .size:           8
        .value_kind:     by_value
      - .offset:         16
        .size:           8
        .value_kind:     by_value
      - .offset:         24
        .size:           8
        .value_kind:     by_value
      - .offset:         32
        .size:           1
        .value_kind:     by_value
      - .address_space:  global
        .offset:         40
        .size:           8
        .value_kind:     global_buffer
      - .offset:         48
        .size:           8
        .value_kind:     by_value
      - .offset:         56
        .size:           8
        .value_kind:     by_value
      - .offset:         64
        .size:           8
        .value_kind:     by_value
      - .offset:         72
        .size:           8
        .value_kind:     by_value
      - .offset:         80
        .size:           1
        .value_kind:     by_value
      - .address_space:  global
        .offset:         88
        .size:           8
        .value_kind:     global_buffer
      - .offset:         96
        .size:           8
        .value_kind:     by_value
      - .offset:         104
        .size:           8
        .value_kind:     by_value
      - .offset:         112
        .size:           8
        .value_kind:     by_value
      - .offset:         120
        .size:           8
        .value_kind:     by_value
      - .offset:         128
        .size:           8
        .value_kind:     by_value
      - .address_space:  global
        .offset:         136
        .size:           8
        .value_kind:     global_buffer
      - .offset:         144
        .size:           8
        .value_kind:     by_value
      - .offset:         152
        .size:           8
        .value_kind:     by_value
      - .offset:         160
        .size:           8
        .value_kind:     by_value
      - .offset:         168
        .size:           8
        .value_kind:     by_value
      - .offset:         176
        .size:           4
        .value_kind:     hidden_block_count_x
      - .offset:         180
        .size:           4
        .value_kind:     hidden_block_count_y
      - .offset:         184
        .size:           4
        .value_kind:     hidden_block_count_z
      - .offset:         188
        .size:           2
        .value_kind:     hidden_group_size_x
      - .offset:         190
        .size:           2
        .value_kind:     hidden_group_size_y
      - .offset:         192
        .size:           2
        .value_kind:     hidden_group_size_z
      - .offset:         194
        .size:           2
        .value_kind:     hidden_remainder_x
      - .offset:         196
        .size:           2
        .value_kind:     hidden_remainder_y
      - .offset:         198
        .size:           2
        .value_kind:     hidden_remainder_z
      - .offset:         216
        .size:           8
        .value_kind:     hidden_global_offset_x
      - .offset:         224
        .size:           8
        .value_kind:     hidden_global_offset_y
      - .offset:         232
        .size:           8
        .value_kind:     hidden_global_offset_z
      - .offset:         240
        .size:           2
        .value_kind:     hidden_grid_dims
    .group_segment_fixed_size: 0
    .kernarg_segment_align: 8
    .kernarg_segment_size: 432
    .language:       OpenCL C
    .language_version:
      - 2
      - 0
    .max_flat_workgroup_size: 1024
    .name:           _ZN9rocsolver6v33100L11gemm_kernelI19rocblas_complex_numIfElS3_PKPS3_S6_S6_EEvT0_S7_S7_T1_bT2_lS7_S7_lbT3_lS7_S7_lS8_T4_lS7_S7_l
    .private_segment_fixed_size: 0
    .sgpr_count:     40
    .sgpr_spill_count: 0
    .symbol:         _ZN9rocsolver6v33100L11gemm_kernelI19rocblas_complex_numIfElS3_PKPS3_S6_S6_EEvT0_S7_S7_T1_bT2_lS7_S7_lbT3_lS7_S7_lS8_T4_lS7_S7_l.kd
    .uniform_work_group_size: 1
    .uses_dynamic_stack: false
    .vgpr_count:     18
    .vgpr_spill_count: 0
    .wavefront_size: 32
  - .args:
      - .address_space:  global
        .offset:         0
        .size:           8
        .value_kind:     global_buffer
      - .address_space:  global
        .offset:         8
        .size:           8
        .value_kind:     global_buffer
      - .offset:         16
        .size:           8
        .value_kind:     by_value
      - .offset:         24
        .size:           8
        .value_kind:     by_value
      - .offset:         32
        .size:           4
        .value_kind:     hidden_block_count_x
      - .offset:         36
        .size:           4
        .value_kind:     hidden_block_count_y
      - .offset:         40
        .size:           4
        .value_kind:     hidden_block_count_z
      - .offset:         44
        .size:           2
        .value_kind:     hidden_group_size_x
      - .offset:         46
        .size:           2
        .value_kind:     hidden_group_size_y
      - .offset:         48
        .size:           2
        .value_kind:     hidden_group_size_z
      - .offset:         50
        .size:           2
        .value_kind:     hidden_remainder_x
      - .offset:         52
        .size:           2
        .value_kind:     hidden_remainder_y
      - .offset:         54
        .size:           2
        .value_kind:     hidden_remainder_z
      - .offset:         72
        .size:           8
        .value_kind:     hidden_global_offset_x
      - .offset:         80
        .size:           8
        .value_kind:     hidden_global_offset_y
      - .offset:         88
        .size:           8
        .value_kind:     hidden_global_offset_z
      - .offset:         96
        .size:           2
        .value_kind:     hidden_grid_dims
    .group_segment_fixed_size: 0
    .kernarg_segment_align: 8
    .kernarg_segment_size: 288
    .language:       OpenCL C
    .language_version:
      - 2
      - 0
    .max_flat_workgroup_size: 1024
    .name:           _ZN9rocsolver6v33100L9get_arrayI19rocblas_complex_numIfElEEvPPT_S5_lT0_
    .private_segment_fixed_size: 0
    .sgpr_count:     13
    .sgpr_spill_count: 0
    .symbol:         _ZN9rocsolver6v33100L9get_arrayI19rocblas_complex_numIfElEEvPPT_S5_lT0_.kd
    .uniform_work_group_size: 1
    .uses_dynamic_stack: false
    .vgpr_count:     4
    .vgpr_spill_count: 0
    .wavefront_size: 32
  - .args:
      - .offset:         0
        .size:           4
        .value_kind:     by_value
      - .offset:         4
        .size:           4
        .value_kind:     by_value
      - .offset:         8
        .size:           8
        .value_kind:     by_value
      - .offset:         16
        .size:           8
        .value_kind:     by_value
      - .offset:         24
        .size:           8
        .value_kind:     by_value
      - .address_space:  global
        .offset:         32
        .size:           8
        .value_kind:     global_buffer
      - .address_space:  global
        .offset:         40
        .size:           8
        .value_kind:     global_buffer
      - .offset:         48
        .size:           8
        .value_kind:     by_value
      - .offset:         56
        .size:           8
        .value_kind:     by_value
      - .offset:         64
        .size:           8
        .value_kind:     by_value
      - .offset:         72
        .size:           8
        .value_kind:     by_value
      - .address_space:  global
        .offset:         80
        .size:           8
        .value_kind:     global_buffer
      - .offset:         88
        .size:           8
        .value_kind:     by_value
      - .offset:         96
        .size:           8
        .value_kind:     by_value
      - .offset:         104
        .size:           8
        .value_kind:     by_value
      - .offset:         112
        .size:           8
        .value_kind:     by_value
      - .address_space:  global
        .offset:         120
        .size:           8
        .value_kind:     global_buffer
      - .address_space:  global
        .offset:         128
        .size:           8
        .value_kind:     global_buffer
      - .offset:         136
        .size:           8
        .value_kind:     by_value
      - .offset:         144
        .size:           8
        .value_kind:     by_value
      - .offset:         152
        .size:           8
        .value_kind:     by_value
      - .offset:         160
        .size:           8
        .value_kind:     by_value
    .group_segment_fixed_size: 0
    .kernarg_segment_align: 8
    .kernarg_segment_size: 168
    .language:       OpenCL C
    .language_version:
      - 2
      - 0
    .max_flat_workgroup_size: 1024
    .name:           _ZN9rocsolver6v33100L16mfma_gemm_kernelI19rocblas_complex_numIfElPKS3_PS3_PKS6_S8_EEv18rocblas_operation_S9_T0_SA_SA_T1_T2_lSA_SA_lT3_lSA_SA_lSB_T4_lSA_SA_l
    .private_segment_fixed_size: 0
    .sgpr_count:     0
    .sgpr_spill_count: 0
    .symbol:         _ZN9rocsolver6v33100L16mfma_gemm_kernelI19rocblas_complex_numIfElPKS3_PS3_PKS6_S8_EEv18rocblas_operation_S9_T0_SA_SA_T1_T2_lSA_SA_lT3_lSA_SA_lSB_T4_lSA_SA_l.kd
    .uniform_work_group_size: 1
    .uses_dynamic_stack: false
    .vgpr_count:     0
    .vgpr_spill_count: 0
    .wavefront_size: 32
  - .args:
      - .offset:         0
        .size:           4
        .value_kind:     by_value
      - .offset:         4
        .size:           4
        .value_kind:     by_value
      - .offset:         8
        .size:           8
        .value_kind:     by_value
      - .offset:         16
        .size:           8
        .value_kind:     by_value
      - .offset:         24
        .size:           8
        .value_kind:     by_value
      - .offset:         32
        .size:           8
        .value_kind:     by_value
      - .address_space:  global
        .offset:         40
        .size:           8
        .value_kind:     global_buffer
      - .offset:         48
        .size:           8
        .value_kind:     by_value
      - .offset:         56
        .size:           8
        .value_kind:     by_value
      - .offset:         64
        .size:           8
        .value_kind:     by_value
      - .offset:         72
        .size:           8
        .value_kind:     by_value
      - .address_space:  global
        .offset:         80
        .size:           8
        .value_kind:     global_buffer
      - .offset:         88
        .size:           8
        .value_kind:     by_value
      - .offset:         96
        .size:           8
        .value_kind:     by_value
      - .offset:         104
        .size:           8
        .value_kind:     by_value
      - .offset:         112
        .size:           8
        .value_kind:     by_value
      - .offset:         120
        .size:           8
        .value_kind:     by_value
      - .address_space:  global
        .offset:         128
        .size:           8
        .value_kind:     global_buffer
      - .offset:         136
        .size:           8
        .value_kind:     by_value
      - .offset:         144
        .size:           8
        .value_kind:     by_value
      - .offset:         152
        .size:           8
        .value_kind:     by_value
      - .offset:         160
        .size:           8
        .value_kind:     by_value
    .group_segment_fixed_size: 0
    .kernarg_segment_align: 8
    .kernarg_segment_size: 168
    .language:       OpenCL C
    .language_version:
      - 2
      - 0
    .max_flat_workgroup_size: 1024
    .name:           _ZN9rocsolver6v33100L16mfma_gemm_kernelI19rocblas_complex_numIfElS3_PS3_PKS4_S6_EEv18rocblas_operation_S7_T0_S8_S8_T1_T2_lS8_S8_lT3_lS8_S8_lS9_T4_lS8_S8_l
    .private_segment_fixed_size: 0
    .sgpr_count:     0
    .sgpr_spill_count: 0
    .symbol:         _ZN9rocsolver6v33100L16mfma_gemm_kernelI19rocblas_complex_numIfElS3_PS3_PKS4_S6_EEv18rocblas_operation_S7_T0_S8_S8_T1_T2_lS8_S8_lT3_lS8_S8_lS9_T4_lS8_S8_l.kd
    .uniform_work_group_size: 1
    .uses_dynamic_stack: false
    .vgpr_count:     0
    .vgpr_spill_count: 0
    .wavefront_size: 32
  - .args:
      - .offset:         0
        .size:           8
        .value_kind:     by_value
      - .offset:         8
        .size:           8
        .value_kind:     by_value
      - .offset:         16
        .size:           8
        .value_kind:     by_value
      - .address_space:  global
        .offset:         24
        .size:           8
        .value_kind:     global_buffer
      - .offset:         32
        .size:           1
        .value_kind:     by_value
      - .address_space:  global
        .offset:         40
        .size:           8
        .value_kind:     global_buffer
      - .offset:         48
        .size:           8
        .value_kind:     by_value
      - .offset:         56
        .size:           8
        .value_kind:     by_value
      - .offset:         64
        .size:           8
        .value_kind:     by_value
      - .offset:         72
        .size:           8
        .value_kind:     by_value
      - .offset:         80
        .size:           1
        .value_kind:     by_value
      - .address_space:  global
        .offset:         88
        .size:           8
        .value_kind:     global_buffer
      - .offset:         96
        .size:           8
        .value_kind:     by_value
      - .offset:         104
        .size:           8
        .value_kind:     by_value
      - .offset:         112
        .size:           8
        .value_kind:     by_value
      - .offset:         120
        .size:           8
        .value_kind:     by_value
      - .address_space:  global
        .offset:         128
        .size:           8
        .value_kind:     global_buffer
      - .address_space:  global
        .offset:         136
        .size:           8
        .value_kind:     global_buffer
      - .offset:         144
        .size:           8
        .value_kind:     by_value
      - .offset:         152
        .size:           8
        .value_kind:     by_value
      - .offset:         160
        .size:           8
        .value_kind:     by_value
      - .offset:         168
        .size:           8
        .value_kind:     by_value
      - .offset:         176
        .size:           4
        .value_kind:     hidden_block_count_x
      - .offset:         180
        .size:           4
        .value_kind:     hidden_block_count_y
      - .offset:         184
        .size:           4
        .value_kind:     hidden_block_count_z
      - .offset:         188
        .size:           2
        .value_kind:     hidden_group_size_x
      - .offset:         190
        .size:           2
        .value_kind:     hidden_group_size_y
      - .offset:         192
        .size:           2
        .value_kind:     hidden_group_size_z
      - .offset:         194
        .size:           2
        .value_kind:     hidden_remainder_x
      - .offset:         196
        .size:           2
        .value_kind:     hidden_remainder_y
      - .offset:         198
        .size:           2
        .value_kind:     hidden_remainder_z
      - .offset:         216
        .size:           8
        .value_kind:     hidden_global_offset_x
      - .offset:         224
        .size:           8
        .value_kind:     hidden_global_offset_y
      - .offset:         232
        .size:           8
        .value_kind:     hidden_global_offset_z
      - .offset:         240
        .size:           2
        .value_kind:     hidden_grid_dims
    .group_segment_fixed_size: 0
    .kernarg_segment_align: 8
    .kernarg_segment_size: 432
    .language:       OpenCL C
    .language_version:
      - 2
      - 0
    .max_flat_workgroup_size: 1024
    .name:           _ZN9rocsolver6v33100L11gemm_kernelI19rocblas_complex_numIfElPKS3_PS3_PKS6_S8_EEvT0_S9_S9_T1_bT2_lS9_S9_lbT3_lS9_S9_lSA_T4_lS9_S9_l
    .private_segment_fixed_size: 0
    .sgpr_count:     49
    .sgpr_spill_count: 0
    .symbol:         _ZN9rocsolver6v33100L11gemm_kernelI19rocblas_complex_numIfElPKS3_PS3_PKS6_S8_EEvT0_S9_S9_T1_bT2_lS9_S9_lbT3_lS9_S9_lSA_T4_lS9_S9_l.kd
    .uniform_work_group_size: 1
    .uses_dynamic_stack: false
    .vgpr_count:     18
    .vgpr_spill_count: 0
    .wavefront_size: 32
  - .args:
      - .offset:         0
        .size:           8
        .value_kind:     by_value
      - .offset:         8
        .size:           8
        .value_kind:     by_value
      - .offset:         16
        .size:           8
        .value_kind:     by_value
      - .offset:         24
        .size:           8
        .value_kind:     by_value
      - .offset:         32
        .size:           1
        .value_kind:     by_value
      - .address_space:  global
        .offset:         40
        .size:           8
        .value_kind:     global_buffer
      - .offset:         48
        .size:           8
        .value_kind:     by_value
      - .offset:         56
        .size:           8
        .value_kind:     by_value
      - .offset:         64
        .size:           8
        .value_kind:     by_value
      - .offset:         72
        .size:           8
        .value_kind:     by_value
      - .offset:         80
        .size:           1
        .value_kind:     by_value
      - .address_space:  global
        .offset:         88
        .size:           8
        .value_kind:     global_buffer
      - .offset:         96
        .size:           8
        .value_kind:     by_value
      - .offset:         104
        .size:           8
        .value_kind:     by_value
      - .offset:         112
        .size:           8
        .value_kind:     by_value
      - .offset:         120
        .size:           8
        .value_kind:     by_value
      - .offset:         128
        .size:           8
        .value_kind:     by_value
      - .address_space:  global
        .offset:         136
        .size:           8
        .value_kind:     global_buffer
      - .offset:         144
        .size:           8
        .value_kind:     by_value
      - .offset:         152
        .size:           8
        .value_kind:     by_value
      - .offset:         160
        .size:           8
        .value_kind:     by_value
      - .offset:         168
        .size:           8
        .value_kind:     by_value
      - .offset:         176
        .size:           4
        .value_kind:     hidden_block_count_x
      - .offset:         180
        .size:           4
        .value_kind:     hidden_block_count_y
      - .offset:         184
        .size:           4
        .value_kind:     hidden_block_count_z
      - .offset:         188
        .size:           2
        .value_kind:     hidden_group_size_x
      - .offset:         190
        .size:           2
        .value_kind:     hidden_group_size_y
      - .offset:         192
        .size:           2
        .value_kind:     hidden_group_size_z
      - .offset:         194
        .size:           2
        .value_kind:     hidden_remainder_x
      - .offset:         196
        .size:           2
        .value_kind:     hidden_remainder_y
      - .offset:         198
        .size:           2
        .value_kind:     hidden_remainder_z
      - .offset:         216
        .size:           8
        .value_kind:     hidden_global_offset_x
      - .offset:         224
        .size:           8
        .value_kind:     hidden_global_offset_y
      - .offset:         232
        .size:           8
        .value_kind:     hidden_global_offset_z
      - .offset:         240
        .size:           2
        .value_kind:     hidden_grid_dims
    .group_segment_fixed_size: 0
    .kernarg_segment_align: 8
    .kernarg_segment_size: 432
    .language:       OpenCL C
    .language_version:
      - 2
      - 0
    .max_flat_workgroup_size: 1024
    .name:           _ZN9rocsolver6v33100L11gemm_kernelI19rocblas_complex_numIfElS3_PS3_PKS4_S6_EEvT0_S7_S7_T1_bT2_lS7_S7_lbT3_lS7_S7_lS8_T4_lS7_S7_l
    .private_segment_fixed_size: 0
    .sgpr_count:     45
    .sgpr_spill_count: 0
    .symbol:         _ZN9rocsolver6v33100L11gemm_kernelI19rocblas_complex_numIfElS3_PS3_PKS4_S6_EEvT0_S7_S7_T1_bT2_lS7_S7_lbT3_lS7_S7_lS8_T4_lS7_S7_l.kd
    .uniform_work_group_size: 1
    .uses_dynamic_stack: false
    .vgpr_count:     18
    .vgpr_spill_count: 0
    .wavefront_size: 32
  - .args:
      - .offset:         0
        .size:           4
        .value_kind:     by_value
      - .offset:         4
        .size:           4
        .value_kind:     by_value
      - .offset:         8
        .size:           8
        .value_kind:     by_value
      - .offset:         16
        .size:           8
        .value_kind:     by_value
      - .offset:         24
        .size:           8
        .value_kind:     by_value
      - .address_space:  global
        .offset:         32
        .size:           8
        .value_kind:     global_buffer
      - .address_space:  global
        .offset:         40
        .size:           8
        .value_kind:     global_buffer
      - .offset:         48
        .size:           8
        .value_kind:     by_value
      - .offset:         56
        .size:           8
        .value_kind:     by_value
      - .offset:         64
        .size:           8
        .value_kind:     by_value
      - .offset:         72
        .size:           8
        .value_kind:     by_value
      - .address_space:  global
        .offset:         80
        .size:           8
        .value_kind:     global_buffer
      - .offset:         88
        .size:           8
        .value_kind:     by_value
      - .offset:         96
        .size:           8
        .value_kind:     by_value
      - .offset:         104
        .size:           8
        .value_kind:     by_value
      - .offset:         112
        .size:           8
        .value_kind:     by_value
      - .address_space:  global
        .offset:         120
        .size:           8
        .value_kind:     global_buffer
      - .address_space:  global
        .offset:         128
        .size:           8
        .value_kind:     global_buffer
      - .offset:         136
        .size:           8
        .value_kind:     by_value
      - .offset:         144
        .size:           8
        .value_kind:     by_value
      - .offset:         152
        .size:           8
        .value_kind:     by_value
      - .offset:         160
        .size:           8
        .value_kind:     by_value
    .group_segment_fixed_size: 0
    .kernarg_segment_align: 8
    .kernarg_segment_size: 168
    .language:       OpenCL C
    .language_version:
      - 2
      - 0
    .max_flat_workgroup_size: 1024
    .name:           _ZN9rocsolver6v33100L16mfma_gemm_kernelI19rocblas_complex_numIfElPKS3_PKPS3_S6_S8_EEv18rocblas_operation_S9_T0_SA_SA_T1_T2_lSA_SA_lT3_lSA_SA_lSB_T4_lSA_SA_l
    .private_segment_fixed_size: 0
    .sgpr_count:     0
    .sgpr_spill_count: 0
    .symbol:         _ZN9rocsolver6v33100L16mfma_gemm_kernelI19rocblas_complex_numIfElPKS3_PKPS3_S6_S8_EEv18rocblas_operation_S9_T0_SA_SA_T1_T2_lSA_SA_lT3_lSA_SA_lSB_T4_lSA_SA_l.kd
    .uniform_work_group_size: 1
    .uses_dynamic_stack: false
    .vgpr_count:     0
    .vgpr_spill_count: 0
    .wavefront_size: 32
  - .args:
      - .offset:         0
        .size:           4
        .value_kind:     by_value
      - .offset:         4
        .size:           4
        .value_kind:     by_value
      - .offset:         8
        .size:           8
        .value_kind:     by_value
      - .offset:         16
        .size:           8
        .value_kind:     by_value
      - .offset:         24
        .size:           8
        .value_kind:     by_value
      - .offset:         32
        .size:           8
        .value_kind:     by_value
      - .address_space:  global
        .offset:         40
        .size:           8
        .value_kind:     global_buffer
      - .offset:         48
        .size:           8
        .value_kind:     by_value
      - .offset:         56
        .size:           8
        .value_kind:     by_value
      - .offset:         64
        .size:           8
        .value_kind:     by_value
      - .offset:         72
        .size:           8
        .value_kind:     by_value
      - .address_space:  global
        .offset:         80
        .size:           8
        .value_kind:     global_buffer
      - .offset:         88
        .size:           8
        .value_kind:     by_value
      - .offset:         96
        .size:           8
        .value_kind:     by_value
      - .offset:         104
        .size:           8
        .value_kind:     by_value
      - .offset:         112
        .size:           8
        .value_kind:     by_value
      - .offset:         120
        .size:           8
        .value_kind:     by_value
      - .address_space:  global
        .offset:         128
        .size:           8
        .value_kind:     global_buffer
      - .offset:         136
        .size:           8
        .value_kind:     by_value
      - .offset:         144
        .size:           8
        .value_kind:     by_value
      - .offset:         152
        .size:           8
        .value_kind:     by_value
      - .offset:         160
        .size:           8
        .value_kind:     by_value
    .group_segment_fixed_size: 0
    .kernarg_segment_align: 8
    .kernarg_segment_size: 168
    .language:       OpenCL C
    .language_version:
      - 2
      - 0
    .max_flat_workgroup_size: 1024
    .name:           _ZN9rocsolver6v33100L16mfma_gemm_kernelI19rocblas_complex_numIfElS3_PKPS3_S4_S6_EEv18rocblas_operation_S7_T0_S8_S8_T1_T2_lS8_S8_lT3_lS8_S8_lS9_T4_lS8_S8_l
    .private_segment_fixed_size: 0
    .sgpr_count:     0
    .sgpr_spill_count: 0
    .symbol:         _ZN9rocsolver6v33100L16mfma_gemm_kernelI19rocblas_complex_numIfElS3_PKPS3_S4_S6_EEv18rocblas_operation_S7_T0_S8_S8_T1_T2_lS8_S8_lT3_lS8_S8_lS9_T4_lS8_S8_l.kd
    .uniform_work_group_size: 1
    .uses_dynamic_stack: false
    .vgpr_count:     0
    .vgpr_spill_count: 0
    .wavefront_size: 32
  - .args:
      - .offset:         0
        .size:           8
        .value_kind:     by_value
      - .offset:         8
        .size:           8
        .value_kind:     by_value
      - .offset:         16
        .size:           8
        .value_kind:     by_value
      - .address_space:  global
        .offset:         24
        .size:           8
        .value_kind:     global_buffer
      - .offset:         32
        .size:           1
        .value_kind:     by_value
      - .address_space:  global
        .offset:         40
        .size:           8
        .value_kind:     global_buffer
      - .offset:         48
        .size:           8
        .value_kind:     by_value
      - .offset:         56
        .size:           8
        .value_kind:     by_value
      - .offset:         64
        .size:           8
        .value_kind:     by_value
      - .offset:         72
        .size:           8
        .value_kind:     by_value
      - .offset:         80
        .size:           1
        .value_kind:     by_value
      - .address_space:  global
        .offset:         88
        .size:           8
        .value_kind:     global_buffer
      - .offset:         96
        .size:           8
        .value_kind:     by_value
      - .offset:         104
        .size:           8
        .value_kind:     by_value
      - .offset:         112
        .size:           8
        .value_kind:     by_value
      - .offset:         120
        .size:           8
        .value_kind:     by_value
      - .address_space:  global
        .offset:         128
        .size:           8
        .value_kind:     global_buffer
      - .address_space:  global
        .offset:         136
        .size:           8
        .value_kind:     global_buffer
      - .offset:         144
        .size:           8
        .value_kind:     by_value
      - .offset:         152
        .size:           8
        .value_kind:     by_value
      - .offset:         160
        .size:           8
        .value_kind:     by_value
      - .offset:         168
        .size:           8
        .value_kind:     by_value
      - .offset:         176
        .size:           4
        .value_kind:     hidden_block_count_x
      - .offset:         180
        .size:           4
        .value_kind:     hidden_block_count_y
      - .offset:         184
        .size:           4
        .value_kind:     hidden_block_count_z
      - .offset:         188
        .size:           2
        .value_kind:     hidden_group_size_x
      - .offset:         190
        .size:           2
        .value_kind:     hidden_group_size_y
      - .offset:         192
        .size:           2
        .value_kind:     hidden_group_size_z
      - .offset:         194
        .size:           2
        .value_kind:     hidden_remainder_x
      - .offset:         196
        .size:           2
        .value_kind:     hidden_remainder_y
      - .offset:         198
        .size:           2
        .value_kind:     hidden_remainder_z
      - .offset:         216
        .size:           8
        .value_kind:     hidden_global_offset_x
      - .offset:         224
        .size:           8
        .value_kind:     hidden_global_offset_y
      - .offset:         232
        .size:           8
        .value_kind:     hidden_global_offset_z
      - .offset:         240
        .size:           2
        .value_kind:     hidden_grid_dims
    .group_segment_fixed_size: 0
    .kernarg_segment_align: 8
    .kernarg_segment_size: 432
    .language:       OpenCL C
    .language_version:
      - 2
      - 0
    .max_flat_workgroup_size: 1024
    .name:           _ZN9rocsolver6v33100L11gemm_kernelI19rocblas_complex_numIfElPKS3_PKPS3_S6_S8_EEvT0_S9_S9_T1_bT2_lS9_S9_lbT3_lS9_S9_lSA_T4_lS9_S9_l
    .private_segment_fixed_size: 0
    .sgpr_count:     40
    .sgpr_spill_count: 0
    .symbol:         _ZN9rocsolver6v33100L11gemm_kernelI19rocblas_complex_numIfElPKS3_PKPS3_S6_S8_EEvT0_S9_S9_T1_bT2_lS9_S9_lbT3_lS9_S9_lSA_T4_lS9_S9_l.kd
    .uniform_work_group_size: 1
    .uses_dynamic_stack: false
    .vgpr_count:     18
    .vgpr_spill_count: 0
    .wavefront_size: 32
  - .args:
      - .offset:         0
        .size:           8
        .value_kind:     by_value
      - .offset:         8
        .size:           8
        .value_kind:     by_value
      - .offset:         16
        .size:           8
        .value_kind:     by_value
      - .offset:         24
        .size:           8
        .value_kind:     by_value
      - .offset:         32
        .size:           1
        .value_kind:     by_value
      - .address_space:  global
        .offset:         40
        .size:           8
        .value_kind:     global_buffer
      - .offset:         48
        .size:           8
        .value_kind:     by_value
      - .offset:         56
        .size:           8
        .value_kind:     by_value
      - .offset:         64
        .size:           8
        .value_kind:     by_value
      - .offset:         72
        .size:           8
        .value_kind:     by_value
      - .offset:         80
        .size:           1
        .value_kind:     by_value
      - .address_space:  global
        .offset:         88
        .size:           8
        .value_kind:     global_buffer
      - .offset:         96
        .size:           8
        .value_kind:     by_value
      - .offset:         104
        .size:           8
        .value_kind:     by_value
      - .offset:         112
        .size:           8
        .value_kind:     by_value
      - .offset:         120
        .size:           8
        .value_kind:     by_value
      - .offset:         128
        .size:           8
        .value_kind:     by_value
      - .address_space:  global
        .offset:         136
        .size:           8
        .value_kind:     global_buffer
      - .offset:         144
        .size:           8
        .value_kind:     by_value
      - .offset:         152
        .size:           8
        .value_kind:     by_value
      - .offset:         160
        .size:           8
        .value_kind:     by_value
      - .offset:         168
        .size:           8
        .value_kind:     by_value
      - .offset:         176
        .size:           4
        .value_kind:     hidden_block_count_x
      - .offset:         180
        .size:           4
        .value_kind:     hidden_block_count_y
      - .offset:         184
        .size:           4
        .value_kind:     hidden_block_count_z
      - .offset:         188
        .size:           2
        .value_kind:     hidden_group_size_x
      - .offset:         190
        .size:           2
        .value_kind:     hidden_group_size_y
      - .offset:         192
        .size:           2
        .value_kind:     hidden_group_size_z
      - .offset:         194
        .size:           2
        .value_kind:     hidden_remainder_x
      - .offset:         196
        .size:           2
        .value_kind:     hidden_remainder_y
      - .offset:         198
        .size:           2
        .value_kind:     hidden_remainder_z
      - .offset:         216
        .size:           8
        .value_kind:     hidden_global_offset_x
      - .offset:         224
        .size:           8
        .value_kind:     hidden_global_offset_y
      - .offset:         232
        .size:           8
        .value_kind:     hidden_global_offset_z
      - .offset:         240
        .size:           2
        .value_kind:     hidden_grid_dims
    .group_segment_fixed_size: 0
    .kernarg_segment_align: 8
    .kernarg_segment_size: 432
    .language:       OpenCL C
    .language_version:
      - 2
      - 0
    .max_flat_workgroup_size: 1024
    .name:           _ZN9rocsolver6v33100L11gemm_kernelI19rocblas_complex_numIfElS3_PKPS3_S4_S6_EEvT0_S7_S7_T1_bT2_lS7_S7_lbT3_lS7_S7_lS8_T4_lS7_S7_l
    .private_segment_fixed_size: 0
    .sgpr_count:     42
    .sgpr_spill_count: 0
    .symbol:         _ZN9rocsolver6v33100L11gemm_kernelI19rocblas_complex_numIfElS3_PKPS3_S4_S6_EEvT0_S7_S7_T1_bT2_lS7_S7_lbT3_lS7_S7_lS8_T4_lS7_S7_l.kd
    .uniform_work_group_size: 1
    .uses_dynamic_stack: false
    .vgpr_count:     18
    .vgpr_spill_count: 0
    .wavefront_size: 32
  - .args:
      - .offset:         0
        .size:           4
        .value_kind:     by_value
      - .offset:         4
        .size:           4
        .value_kind:     by_value
      - .offset:         8
        .size:           8
        .value_kind:     by_value
      - .offset:         16
        .size:           8
        .value_kind:     by_value
      - .offset:         24
        .size:           8
        .value_kind:     by_value
      - .address_space:  global
        .offset:         32
        .size:           8
        .value_kind:     global_buffer
      - .address_space:  global
        .offset:         40
        .size:           8
        .value_kind:     global_buffer
      - .offset:         48
        .size:           8
        .value_kind:     by_value
      - .offset:         56
        .size:           8
        .value_kind:     by_value
      - .offset:         64
        .size:           8
        .value_kind:     by_value
      - .offset:         72
        .size:           8
        .value_kind:     by_value
      - .address_space:  global
        .offset:         80
        .size:           8
        .value_kind:     global_buffer
      - .offset:         88
        .size:           8
        .value_kind:     by_value
      - .offset:         96
        .size:           8
        .value_kind:     by_value
      - .offset:         104
        .size:           8
        .value_kind:     by_value
      - .offset:         112
        .size:           8
        .value_kind:     by_value
      - .address_space:  global
        .offset:         120
        .size:           8
        .value_kind:     global_buffer
      - .address_space:  global
        .offset:         128
        .size:           8
        .value_kind:     global_buffer
      - .offset:         136
        .size:           8
        .value_kind:     by_value
      - .offset:         144
        .size:           8
        .value_kind:     by_value
      - .offset:         152
        .size:           8
        .value_kind:     by_value
      - .offset:         160
        .size:           8
        .value_kind:     by_value
    .group_segment_fixed_size: 0
    .kernarg_segment_align: 8
    .kernarg_segment_size: 168
    .language:       OpenCL C
    .language_version:
      - 2
      - 0
    .max_flat_workgroup_size: 1024
    .name:           _ZN9rocsolver6v33100L16mfma_gemm_kernelI19rocblas_complex_numIfElPKS3_PKPS3_S8_S6_EEv18rocblas_operation_S9_T0_SA_SA_T1_T2_lSA_SA_lT3_lSA_SA_lSB_T4_lSA_SA_l
    .private_segment_fixed_size: 0
    .sgpr_count:     0
    .sgpr_spill_count: 0
    .symbol:         _ZN9rocsolver6v33100L16mfma_gemm_kernelI19rocblas_complex_numIfElPKS3_PKPS3_S8_S6_EEv18rocblas_operation_S9_T0_SA_SA_T1_T2_lSA_SA_lT3_lSA_SA_lSB_T4_lSA_SA_l.kd
    .uniform_work_group_size: 1
    .uses_dynamic_stack: false
    .vgpr_count:     0
    .vgpr_spill_count: 0
    .wavefront_size: 32
  - .args:
      - .offset:         0
        .size:           4
        .value_kind:     by_value
      - .offset:         4
        .size:           4
        .value_kind:     by_value
      - .offset:         8
        .size:           8
        .value_kind:     by_value
      - .offset:         16
        .size:           8
        .value_kind:     by_value
      - .offset:         24
        .size:           8
        .value_kind:     by_value
      - .offset:         32
        .size:           8
        .value_kind:     by_value
      - .address_space:  global
        .offset:         40
        .size:           8
        .value_kind:     global_buffer
      - .offset:         48
        .size:           8
        .value_kind:     by_value
      - .offset:         56
        .size:           8
        .value_kind:     by_value
      - .offset:         64
        .size:           8
        .value_kind:     by_value
      - .offset:         72
        .size:           8
        .value_kind:     by_value
      - .address_space:  global
        .offset:         80
        .size:           8
        .value_kind:     global_buffer
      - .offset:         88
        .size:           8
        .value_kind:     by_value
      - .offset:         96
        .size:           8
        .value_kind:     by_value
      - .offset:         104
        .size:           8
        .value_kind:     by_value
      - .offset:         112
        .size:           8
        .value_kind:     by_value
      - .offset:         120
        .size:           8
        .value_kind:     by_value
      - .address_space:  global
        .offset:         128
        .size:           8
        .value_kind:     global_buffer
      - .offset:         136
        .size:           8
        .value_kind:     by_value
      - .offset:         144
        .size:           8
        .value_kind:     by_value
      - .offset:         152
        .size:           8
        .value_kind:     by_value
      - .offset:         160
        .size:           8
        .value_kind:     by_value
    .group_segment_fixed_size: 0
    .kernarg_segment_align: 8
    .kernarg_segment_size: 168
    .language:       OpenCL C
    .language_version:
      - 2
      - 0
    .max_flat_workgroup_size: 1024
    .name:           _ZN9rocsolver6v33100L16mfma_gemm_kernelI19rocblas_complex_numIfElS3_PKPS3_S6_S4_EEv18rocblas_operation_S7_T0_S8_S8_T1_T2_lS8_S8_lT3_lS8_S8_lS9_T4_lS8_S8_l
    .private_segment_fixed_size: 0
    .sgpr_count:     0
    .sgpr_spill_count: 0
    .symbol:         _ZN9rocsolver6v33100L16mfma_gemm_kernelI19rocblas_complex_numIfElS3_PKPS3_S6_S4_EEv18rocblas_operation_S7_T0_S8_S8_T1_T2_lS8_S8_lT3_lS8_S8_lS9_T4_lS8_S8_l.kd
    .uniform_work_group_size: 1
    .uses_dynamic_stack: false
    .vgpr_count:     0
    .vgpr_spill_count: 0
    .wavefront_size: 32
  - .args:
      - .offset:         0
        .size:           8
        .value_kind:     by_value
      - .offset:         8
        .size:           8
        .value_kind:     by_value
      - .offset:         16
        .size:           8
        .value_kind:     by_value
      - .address_space:  global
        .offset:         24
        .size:           8
        .value_kind:     global_buffer
      - .offset:         32
        .size:           1
        .value_kind:     by_value
      - .address_space:  global
        .offset:         40
        .size:           8
        .value_kind:     global_buffer
      - .offset:         48
        .size:           8
        .value_kind:     by_value
      - .offset:         56
        .size:           8
        .value_kind:     by_value
      - .offset:         64
        .size:           8
        .value_kind:     by_value
      - .offset:         72
        .size:           8
        .value_kind:     by_value
      - .offset:         80
        .size:           1
        .value_kind:     by_value
      - .address_space:  global
        .offset:         88
        .size:           8
        .value_kind:     global_buffer
      - .offset:         96
        .size:           8
        .value_kind:     by_value
      - .offset:         104
        .size:           8
        .value_kind:     by_value
      - .offset:         112
        .size:           8
        .value_kind:     by_value
      - .offset:         120
        .size:           8
        .value_kind:     by_value
      - .address_space:  global
        .offset:         128
        .size:           8
        .value_kind:     global_buffer
      - .address_space:  global
        .offset:         136
        .size:           8
        .value_kind:     global_buffer
      - .offset:         144
        .size:           8
        .value_kind:     by_value
      - .offset:         152
        .size:           8
        .value_kind:     by_value
      - .offset:         160
        .size:           8
        .value_kind:     by_value
      - .offset:         168
        .size:           8
        .value_kind:     by_value
      - .offset:         176
        .size:           4
        .value_kind:     hidden_block_count_x
      - .offset:         180
        .size:           4
        .value_kind:     hidden_block_count_y
      - .offset:         184
        .size:           4
        .value_kind:     hidden_block_count_z
      - .offset:         188
        .size:           2
        .value_kind:     hidden_group_size_x
      - .offset:         190
        .size:           2
        .value_kind:     hidden_group_size_y
      - .offset:         192
        .size:           2
        .value_kind:     hidden_group_size_z
      - .offset:         194
        .size:           2
        .value_kind:     hidden_remainder_x
      - .offset:         196
        .size:           2
        .value_kind:     hidden_remainder_y
      - .offset:         198
        .size:           2
        .value_kind:     hidden_remainder_z
      - .offset:         216
        .size:           8
        .value_kind:     hidden_global_offset_x
      - .offset:         224
        .size:           8
        .value_kind:     hidden_global_offset_y
      - .offset:         232
        .size:           8
        .value_kind:     hidden_global_offset_z
      - .offset:         240
        .size:           2
        .value_kind:     hidden_grid_dims
    .group_segment_fixed_size: 0
    .kernarg_segment_align: 8
    .kernarg_segment_size: 432
    .language:       OpenCL C
    .language_version:
      - 2
      - 0
    .max_flat_workgroup_size: 1024
    .name:           _ZN9rocsolver6v33100L11gemm_kernelI19rocblas_complex_numIfElPKS3_PKPS3_S8_S6_EEvT0_S9_S9_T1_bT2_lS9_S9_lbT3_lS9_S9_lSA_T4_lS9_S9_l
    .private_segment_fixed_size: 0
    .sgpr_count:     42
    .sgpr_spill_count: 0
    .symbol:         _ZN9rocsolver6v33100L11gemm_kernelI19rocblas_complex_numIfElPKS3_PKPS3_S8_S6_EEvT0_S9_S9_T1_bT2_lS9_S9_lbT3_lS9_S9_lSA_T4_lS9_S9_l.kd
    .uniform_work_group_size: 1
    .uses_dynamic_stack: false
    .vgpr_count:     18
    .vgpr_spill_count: 0
    .wavefront_size: 32
  - .args:
      - .offset:         0
        .size:           8
        .value_kind:     by_value
      - .offset:         8
        .size:           8
        .value_kind:     by_value
      - .offset:         16
        .size:           8
        .value_kind:     by_value
      - .offset:         24
        .size:           8
        .value_kind:     by_value
      - .offset:         32
        .size:           1
        .value_kind:     by_value
      - .address_space:  global
        .offset:         40
        .size:           8
        .value_kind:     global_buffer
      - .offset:         48
        .size:           8
        .value_kind:     by_value
      - .offset:         56
        .size:           8
        .value_kind:     by_value
      - .offset:         64
        .size:           8
        .value_kind:     by_value
      - .offset:         72
        .size:           8
        .value_kind:     by_value
      - .offset:         80
        .size:           1
        .value_kind:     by_value
      - .address_space:  global
        .offset:         88
        .size:           8
        .value_kind:     global_buffer
      - .offset:         96
        .size:           8
        .value_kind:     by_value
      - .offset:         104
        .size:           8
        .value_kind:     by_value
      - .offset:         112
        .size:           8
        .value_kind:     by_value
      - .offset:         120
        .size:           8
        .value_kind:     by_value
      - .offset:         128
        .size:           8
        .value_kind:     by_value
      - .address_space:  global
        .offset:         136
        .size:           8
        .value_kind:     global_buffer
      - .offset:         144
        .size:           8
        .value_kind:     by_value
      - .offset:         152
        .size:           8
        .value_kind:     by_value
      - .offset:         160
        .size:           8
        .value_kind:     by_value
      - .offset:         168
        .size:           8
        .value_kind:     by_value
      - .offset:         176
        .size:           4
        .value_kind:     hidden_block_count_x
      - .offset:         180
        .size:           4
        .value_kind:     hidden_block_count_y
      - .offset:         184
        .size:           4
        .value_kind:     hidden_block_count_z
      - .offset:         188
        .size:           2
        .value_kind:     hidden_group_size_x
      - .offset:         190
        .size:           2
        .value_kind:     hidden_group_size_y
      - .offset:         192
        .size:           2
        .value_kind:     hidden_group_size_z
      - .offset:         194
        .size:           2
        .value_kind:     hidden_remainder_x
      - .offset:         196
        .size:           2
        .value_kind:     hidden_remainder_y
      - .offset:         198
        .size:           2
        .value_kind:     hidden_remainder_z
      - .offset:         216
        .size:           8
        .value_kind:     hidden_global_offset_x
      - .offset:         224
        .size:           8
        .value_kind:     hidden_global_offset_y
      - .offset:         232
        .size:           8
        .value_kind:     hidden_global_offset_z
      - .offset:         240
        .size:           2
        .value_kind:     hidden_grid_dims
    .group_segment_fixed_size: 0
    .kernarg_segment_align: 8
    .kernarg_segment_size: 432
    .language:       OpenCL C
    .language_version:
      - 2
      - 0
    .max_flat_workgroup_size: 1024
    .name:           _ZN9rocsolver6v33100L11gemm_kernelI19rocblas_complex_numIfElS3_PKPS3_S6_S4_EEvT0_S7_S7_T1_bT2_lS7_S7_lbT3_lS7_S7_lS8_T4_lS7_S7_l
    .private_segment_fixed_size: 0
    .sgpr_count:     32
    .sgpr_spill_count: 0
    .symbol:         _ZN9rocsolver6v33100L11gemm_kernelI19rocblas_complex_numIfElS3_PKPS3_S6_S4_EEvT0_S7_S7_T1_bT2_lS7_S7_lbT3_lS7_S7_lS8_T4_lS7_S7_l.kd
    .uniform_work_group_size: 1
    .uses_dynamic_stack: false
    .vgpr_count:     18
    .vgpr_spill_count: 0
    .wavefront_size: 32
  - .args:
      - .offset:         0
        .size:           4
        .value_kind:     by_value
      - .offset:         4
        .size:           4
        .value_kind:     by_value
      - .offset:         8
        .size:           8
        .value_kind:     by_value
      - .offset:         16
        .size:           8
        .value_kind:     by_value
      - .offset:         24
        .size:           8
        .value_kind:     by_value
      - .address_space:  global
        .offset:         32
        .size:           8
        .value_kind:     global_buffer
      - .address_space:  global
        .offset:         40
        .size:           8
        .value_kind:     global_buffer
      - .offset:         48
        .size:           8
        .value_kind:     by_value
      - .offset:         56
        .size:           8
        .value_kind:     by_value
      - .offset:         64
        .size:           8
        .value_kind:     by_value
      - .offset:         72
        .size:           8
        .value_kind:     by_value
      - .address_space:  global
        .offset:         80
        .size:           8
        .value_kind:     global_buffer
      - .offset:         88
        .size:           8
        .value_kind:     by_value
      - .offset:         96
        .size:           8
        .value_kind:     by_value
      - .offset:         104
        .size:           8
        .value_kind:     by_value
      - .offset:         112
        .size:           8
        .value_kind:     by_value
      - .address_space:  global
        .offset:         120
        .size:           8
        .value_kind:     global_buffer
      - .address_space:  global
        .offset:         128
        .size:           8
        .value_kind:     global_buffer
      - .offset:         136
        .size:           8
        .value_kind:     by_value
      - .offset:         144
        .size:           8
        .value_kind:     by_value
      - .offset:         152
        .size:           8
        .value_kind:     by_value
      - .offset:         160
        .size:           8
        .value_kind:     by_value
    .group_segment_fixed_size: 0
    .kernarg_segment_align: 8
    .kernarg_segment_size: 168
    .language:       OpenCL C
    .language_version:
      - 2
      - 0
    .max_flat_workgroup_size: 1024
    .name:           _ZN9rocsolver6v33100L16mfma_gemm_kernelI19rocblas_complex_numIfElPKS3_PKPS3_S6_S6_EEv18rocblas_operation_S9_T0_SA_SA_T1_T2_lSA_SA_lT3_lSA_SA_lSB_T4_lSA_SA_l
    .private_segment_fixed_size: 0
    .sgpr_count:     0
    .sgpr_spill_count: 0
    .symbol:         _ZN9rocsolver6v33100L16mfma_gemm_kernelI19rocblas_complex_numIfElPKS3_PKPS3_S6_S6_EEv18rocblas_operation_S9_T0_SA_SA_T1_T2_lSA_SA_lT3_lSA_SA_lSB_T4_lSA_SA_l.kd
    .uniform_work_group_size: 1
    .uses_dynamic_stack: false
    .vgpr_count:     0
    .vgpr_spill_count: 0
    .wavefront_size: 32
  - .args:
      - .offset:         0
        .size:           4
        .value_kind:     by_value
      - .offset:         4
        .size:           4
        .value_kind:     by_value
      - .offset:         8
        .size:           8
        .value_kind:     by_value
      - .offset:         16
        .size:           8
        .value_kind:     by_value
      - .offset:         24
        .size:           8
        .value_kind:     by_value
      - .offset:         32
        .size:           8
        .value_kind:     by_value
      - .address_space:  global
        .offset:         40
        .size:           8
        .value_kind:     global_buffer
      - .offset:         48
        .size:           8
        .value_kind:     by_value
      - .offset:         56
        .size:           8
        .value_kind:     by_value
      - .offset:         64
        .size:           8
        .value_kind:     by_value
      - .offset:         72
        .size:           8
        .value_kind:     by_value
      - .address_space:  global
        .offset:         80
        .size:           8
        .value_kind:     global_buffer
      - .offset:         88
        .size:           8
        .value_kind:     by_value
      - .offset:         96
        .size:           8
        .value_kind:     by_value
      - .offset:         104
        .size:           8
        .value_kind:     by_value
      - .offset:         112
        .size:           8
        .value_kind:     by_value
      - .offset:         120
        .size:           8
        .value_kind:     by_value
      - .address_space:  global
        .offset:         128
        .size:           8
        .value_kind:     global_buffer
      - .offset:         136
        .size:           8
        .value_kind:     by_value
      - .offset:         144
        .size:           8
        .value_kind:     by_value
      - .offset:         152
        .size:           8
        .value_kind:     by_value
      - .offset:         160
        .size:           8
        .value_kind:     by_value
    .group_segment_fixed_size: 0
    .kernarg_segment_align: 8
    .kernarg_segment_size: 168
    .language:       OpenCL C
    .language_version:
      - 2
      - 0
    .max_flat_workgroup_size: 1024
    .name:           _ZN9rocsolver6v33100L16mfma_gemm_kernelI19rocblas_complex_numIfElS3_PKPS3_S4_S4_EEv18rocblas_operation_S7_T0_S8_S8_T1_T2_lS8_S8_lT3_lS8_S8_lS9_T4_lS8_S8_l
    .private_segment_fixed_size: 0
    .sgpr_count:     0
    .sgpr_spill_count: 0
    .symbol:         _ZN9rocsolver6v33100L16mfma_gemm_kernelI19rocblas_complex_numIfElS3_PKPS3_S4_S4_EEv18rocblas_operation_S7_T0_S8_S8_T1_T2_lS8_S8_lT3_lS8_S8_lS9_T4_lS8_S8_l.kd
    .uniform_work_group_size: 1
    .uses_dynamic_stack: false
    .vgpr_count:     0
    .vgpr_spill_count: 0
    .wavefront_size: 32
  - .args:
      - .offset:         0
        .size:           8
        .value_kind:     by_value
      - .offset:         8
        .size:           8
        .value_kind:     by_value
      - .offset:         16
        .size:           8
        .value_kind:     by_value
      - .address_space:  global
        .offset:         24
        .size:           8
        .value_kind:     global_buffer
      - .offset:         32
        .size:           1
        .value_kind:     by_value
      - .address_space:  global
        .offset:         40
        .size:           8
        .value_kind:     global_buffer
      - .offset:         48
        .size:           8
        .value_kind:     by_value
      - .offset:         56
        .size:           8
        .value_kind:     by_value
      - .offset:         64
        .size:           8
        .value_kind:     by_value
      - .offset:         72
        .size:           8
        .value_kind:     by_value
      - .offset:         80
        .size:           1
        .value_kind:     by_value
      - .address_space:  global
        .offset:         88
        .size:           8
        .value_kind:     global_buffer
      - .offset:         96
        .size:           8
        .value_kind:     by_value
      - .offset:         104
        .size:           8
        .value_kind:     by_value
      - .offset:         112
        .size:           8
        .value_kind:     by_value
      - .offset:         120
        .size:           8
        .value_kind:     by_value
      - .address_space:  global
        .offset:         128
        .size:           8
        .value_kind:     global_buffer
      - .address_space:  global
        .offset:         136
        .size:           8
        .value_kind:     global_buffer
      - .offset:         144
        .size:           8
        .value_kind:     by_value
      - .offset:         152
        .size:           8
        .value_kind:     by_value
      - .offset:         160
        .size:           8
        .value_kind:     by_value
      - .offset:         168
        .size:           8
        .value_kind:     by_value
      - .offset:         176
        .size:           4
        .value_kind:     hidden_block_count_x
      - .offset:         180
        .size:           4
        .value_kind:     hidden_block_count_y
      - .offset:         184
        .size:           4
        .value_kind:     hidden_block_count_z
      - .offset:         188
        .size:           2
        .value_kind:     hidden_group_size_x
      - .offset:         190
        .size:           2
        .value_kind:     hidden_group_size_y
      - .offset:         192
        .size:           2
        .value_kind:     hidden_group_size_z
      - .offset:         194
        .size:           2
        .value_kind:     hidden_remainder_x
      - .offset:         196
        .size:           2
        .value_kind:     hidden_remainder_y
      - .offset:         198
        .size:           2
        .value_kind:     hidden_remainder_z
      - .offset:         216
        .size:           8
        .value_kind:     hidden_global_offset_x
      - .offset:         224
        .size:           8
        .value_kind:     hidden_global_offset_y
      - .offset:         232
        .size:           8
        .value_kind:     hidden_global_offset_z
      - .offset:         240
        .size:           2
        .value_kind:     hidden_grid_dims
    .group_segment_fixed_size: 0
    .kernarg_segment_align: 8
    .kernarg_segment_size: 432
    .language:       OpenCL C
    .language_version:
      - 2
      - 0
    .max_flat_workgroup_size: 1024
    .name:           _ZN9rocsolver6v33100L11gemm_kernelI19rocblas_complex_numIfElPKS3_PKPS3_S6_S6_EEvT0_S9_S9_T1_bT2_lS9_S9_lbT3_lS9_S9_lSA_T4_lS9_S9_l
    .private_segment_fixed_size: 0
    .sgpr_count:     38
    .sgpr_spill_count: 0
    .symbol:         _ZN9rocsolver6v33100L11gemm_kernelI19rocblas_complex_numIfElPKS3_PKPS3_S6_S6_EEvT0_S9_S9_T1_bT2_lS9_S9_lbT3_lS9_S9_lSA_T4_lS9_S9_l.kd
    .uniform_work_group_size: 1
    .uses_dynamic_stack: false
    .vgpr_count:     18
    .vgpr_spill_count: 0
    .wavefront_size: 32
  - .args:
      - .offset:         0
        .size:           8
        .value_kind:     by_value
      - .offset:         8
        .size:           8
        .value_kind:     by_value
      - .offset:         16
        .size:           8
        .value_kind:     by_value
      - .offset:         24
        .size:           8
        .value_kind:     by_value
      - .offset:         32
        .size:           1
        .value_kind:     by_value
      - .address_space:  global
        .offset:         40
        .size:           8
        .value_kind:     global_buffer
      - .offset:         48
        .size:           8
        .value_kind:     by_value
      - .offset:         56
        .size:           8
        .value_kind:     by_value
      - .offset:         64
        .size:           8
        .value_kind:     by_value
      - .offset:         72
        .size:           8
        .value_kind:     by_value
      - .offset:         80
        .size:           1
        .value_kind:     by_value
      - .address_space:  global
        .offset:         88
        .size:           8
        .value_kind:     global_buffer
      - .offset:         96
        .size:           8
        .value_kind:     by_value
      - .offset:         104
        .size:           8
        .value_kind:     by_value
      - .offset:         112
        .size:           8
        .value_kind:     by_value
      - .offset:         120
        .size:           8
        .value_kind:     by_value
      - .offset:         128
        .size:           8
        .value_kind:     by_value
      - .address_space:  global
        .offset:         136
        .size:           8
        .value_kind:     global_buffer
      - .offset:         144
        .size:           8
        .value_kind:     by_value
      - .offset:         152
        .size:           8
        .value_kind:     by_value
      - .offset:         160
        .size:           8
        .value_kind:     by_value
      - .offset:         168
        .size:           8
        .value_kind:     by_value
      - .offset:         176
        .size:           4
        .value_kind:     hidden_block_count_x
      - .offset:         180
        .size:           4
        .value_kind:     hidden_block_count_y
      - .offset:         184
        .size:           4
        .value_kind:     hidden_block_count_z
      - .offset:         188
        .size:           2
        .value_kind:     hidden_group_size_x
      - .offset:         190
        .size:           2
        .value_kind:     hidden_group_size_y
      - .offset:         192
        .size:           2
        .value_kind:     hidden_group_size_z
      - .offset:         194
        .size:           2
        .value_kind:     hidden_remainder_x
      - .offset:         196
        .size:           2
        .value_kind:     hidden_remainder_y
      - .offset:         198
        .size:           2
        .value_kind:     hidden_remainder_z
      - .offset:         216
        .size:           8
        .value_kind:     hidden_global_offset_x
      - .offset:         224
        .size:           8
        .value_kind:     hidden_global_offset_y
      - .offset:         232
        .size:           8
        .value_kind:     hidden_global_offset_z
      - .offset:         240
        .size:           2
        .value_kind:     hidden_grid_dims
    .group_segment_fixed_size: 0
    .kernarg_segment_align: 8
    .kernarg_segment_size: 432
    .language:       OpenCL C
    .language_version:
      - 2
      - 0
    .max_flat_workgroup_size: 1024
    .name:           _ZN9rocsolver6v33100L11gemm_kernelI19rocblas_complex_numIfElS3_PKPS3_S4_S4_EEvT0_S7_S7_T1_bT2_lS7_S7_lbT3_lS7_S7_lS8_T4_lS7_S7_l
    .private_segment_fixed_size: 0
    .sgpr_count:     32
    .sgpr_spill_count: 0
    .symbol:         _ZN9rocsolver6v33100L11gemm_kernelI19rocblas_complex_numIfElS3_PKPS3_S4_S4_EEvT0_S7_S7_T1_bT2_lS7_S7_lbT3_lS7_S7_lS8_T4_lS7_S7_l.kd
    .uniform_work_group_size: 1
    .uses_dynamic_stack: false
    .vgpr_count:     18
    .vgpr_spill_count: 0
    .wavefront_size: 32
  - .args:
      - .offset:         0
        .size:           4
        .value_kind:     by_value
      - .offset:         4
        .size:           4
        .value_kind:     by_value
      - .offset:         8
        .size:           8
        .value_kind:     by_value
      - .offset:         16
        .size:           8
        .value_kind:     by_value
      - .offset:         24
        .size:           8
        .value_kind:     by_value
      - .address_space:  global
        .offset:         32
        .size:           8
        .value_kind:     global_buffer
      - .address_space:  global
        .offset:         40
        .size:           8
        .value_kind:     global_buffer
      - .offset:         48
        .size:           8
        .value_kind:     by_value
      - .offset:         56
        .size:           8
        .value_kind:     by_value
      - .offset:         64
        .size:           8
        .value_kind:     by_value
      - .offset:         72
        .size:           8
        .value_kind:     by_value
      - .address_space:  global
        .offset:         80
        .size:           8
        .value_kind:     global_buffer
      - .offset:         88
        .size:           8
        .value_kind:     by_value
      - .offset:         96
        .size:           8
        .value_kind:     by_value
      - .offset:         104
        .size:           8
        .value_kind:     by_value
      - .offset:         112
        .size:           8
        .value_kind:     by_value
      - .address_space:  global
        .offset:         120
        .size:           8
        .value_kind:     global_buffer
      - .address_space:  global
        .offset:         128
        .size:           8
        .value_kind:     global_buffer
      - .offset:         136
        .size:           8
        .value_kind:     by_value
      - .offset:         144
        .size:           8
        .value_kind:     by_value
      - .offset:         152
        .size:           8
        .value_kind:     by_value
      - .offset:         160
        .size:           8
        .value_kind:     by_value
    .group_segment_fixed_size: 0
    .kernarg_segment_align: 8
    .kernarg_segment_size: 168
    .language:       OpenCL C
    .language_version:
      - 2
      - 0
    .max_flat_workgroup_size: 1024
    .name:           _ZN9rocsolver6v33100L16mfma_gemm_kernelI19rocblas_complex_numIfElPKS3_PS3_PKS6_S6_EEv18rocblas_operation_S9_T0_SA_SA_T1_T2_lSA_SA_lT3_lSA_SA_lSB_T4_lSA_SA_l
    .private_segment_fixed_size: 0
    .sgpr_count:     0
    .sgpr_spill_count: 0
    .symbol:         _ZN9rocsolver6v33100L16mfma_gemm_kernelI19rocblas_complex_numIfElPKS3_PS3_PKS6_S6_EEv18rocblas_operation_S9_T0_SA_SA_T1_T2_lSA_SA_lT3_lSA_SA_lSB_T4_lSA_SA_l.kd
    .uniform_work_group_size: 1
    .uses_dynamic_stack: false
    .vgpr_count:     0
    .vgpr_spill_count: 0
    .wavefront_size: 32
  - .args:
      - .offset:         0
        .size:           4
        .value_kind:     by_value
      - .offset:         4
        .size:           4
        .value_kind:     by_value
      - .offset:         8
        .size:           8
        .value_kind:     by_value
      - .offset:         16
        .size:           8
        .value_kind:     by_value
      - .offset:         24
        .size:           8
        .value_kind:     by_value
      - .offset:         32
        .size:           8
        .value_kind:     by_value
      - .address_space:  global
        .offset:         40
        .size:           8
        .value_kind:     global_buffer
      - .offset:         48
        .size:           8
        .value_kind:     by_value
      - .offset:         56
        .size:           8
        .value_kind:     by_value
      - .offset:         64
        .size:           8
        .value_kind:     by_value
      - .offset:         72
        .size:           8
        .value_kind:     by_value
      - .address_space:  global
        .offset:         80
        .size:           8
        .value_kind:     global_buffer
      - .offset:         88
        .size:           8
        .value_kind:     by_value
      - .offset:         96
        .size:           8
        .value_kind:     by_value
      - .offset:         104
        .size:           8
        .value_kind:     by_value
      - .offset:         112
        .size:           8
        .value_kind:     by_value
      - .offset:         120
        .size:           8
        .value_kind:     by_value
      - .address_space:  global
        .offset:         128
        .size:           8
        .value_kind:     global_buffer
      - .offset:         136
        .size:           8
        .value_kind:     by_value
      - .offset:         144
        .size:           8
        .value_kind:     by_value
      - .offset:         152
        .size:           8
        .value_kind:     by_value
      - .offset:         160
        .size:           8
        .value_kind:     by_value
    .group_segment_fixed_size: 0
    .kernarg_segment_align: 8
    .kernarg_segment_size: 168
    .language:       OpenCL C
    .language_version:
      - 2
      - 0
    .max_flat_workgroup_size: 1024
    .name:           _ZN9rocsolver6v33100L16mfma_gemm_kernelI19rocblas_complex_numIfElS3_PS3_PKS4_S4_EEv18rocblas_operation_S7_T0_S8_S8_T1_T2_lS8_S8_lT3_lS8_S8_lS9_T4_lS8_S8_l
    .private_segment_fixed_size: 0
    .sgpr_count:     0
    .sgpr_spill_count: 0
    .symbol:         _ZN9rocsolver6v33100L16mfma_gemm_kernelI19rocblas_complex_numIfElS3_PS3_PKS4_S4_EEv18rocblas_operation_S7_T0_S8_S8_T1_T2_lS8_S8_lT3_lS8_S8_lS9_T4_lS8_S8_l.kd
    .uniform_work_group_size: 1
    .uses_dynamic_stack: false
    .vgpr_count:     0
    .vgpr_spill_count: 0
    .wavefront_size: 32
  - .args:
      - .offset:         0
        .size:           8
        .value_kind:     by_value
      - .offset:         8
        .size:           8
        .value_kind:     by_value
      - .offset:         16
        .size:           8
        .value_kind:     by_value
      - .address_space:  global
        .offset:         24
        .size:           8
        .value_kind:     global_buffer
      - .offset:         32
        .size:           1
        .value_kind:     by_value
      - .address_space:  global
        .offset:         40
        .size:           8
        .value_kind:     global_buffer
      - .offset:         48
        .size:           8
        .value_kind:     by_value
      - .offset:         56
        .size:           8
        .value_kind:     by_value
      - .offset:         64
        .size:           8
        .value_kind:     by_value
      - .offset:         72
        .size:           8
        .value_kind:     by_value
      - .offset:         80
        .size:           1
        .value_kind:     by_value
      - .address_space:  global
        .offset:         88
        .size:           8
        .value_kind:     global_buffer
      - .offset:         96
        .size:           8
        .value_kind:     by_value
      - .offset:         104
        .size:           8
        .value_kind:     by_value
      - .offset:         112
        .size:           8
        .value_kind:     by_value
      - .offset:         120
        .size:           8
        .value_kind:     by_value
      - .address_space:  global
        .offset:         128
        .size:           8
        .value_kind:     global_buffer
      - .address_space:  global
        .offset:         136
        .size:           8
        .value_kind:     global_buffer
      - .offset:         144
        .size:           8
        .value_kind:     by_value
      - .offset:         152
        .size:           8
        .value_kind:     by_value
      - .offset:         160
        .size:           8
        .value_kind:     by_value
      - .offset:         168
        .size:           8
        .value_kind:     by_value
      - .offset:         176
        .size:           4
        .value_kind:     hidden_block_count_x
      - .offset:         180
        .size:           4
        .value_kind:     hidden_block_count_y
      - .offset:         184
        .size:           4
        .value_kind:     hidden_block_count_z
      - .offset:         188
        .size:           2
        .value_kind:     hidden_group_size_x
      - .offset:         190
        .size:           2
        .value_kind:     hidden_group_size_y
      - .offset:         192
        .size:           2
        .value_kind:     hidden_group_size_z
      - .offset:         194
        .size:           2
        .value_kind:     hidden_remainder_x
      - .offset:         196
        .size:           2
        .value_kind:     hidden_remainder_y
      - .offset:         198
        .size:           2
        .value_kind:     hidden_remainder_z
      - .offset:         216
        .size:           8
        .value_kind:     hidden_global_offset_x
      - .offset:         224
        .size:           8
        .value_kind:     hidden_global_offset_y
      - .offset:         232
        .size:           8
        .value_kind:     hidden_global_offset_z
      - .offset:         240
        .size:           2
        .value_kind:     hidden_grid_dims
    .group_segment_fixed_size: 0
    .kernarg_segment_align: 8
    .kernarg_segment_size: 432
    .language:       OpenCL C
    .language_version:
      - 2
      - 0
    .max_flat_workgroup_size: 1024
    .name:           _ZN9rocsolver6v33100L11gemm_kernelI19rocblas_complex_numIfElPKS3_PS3_PKS6_S6_EEvT0_S9_S9_T1_bT2_lS9_S9_lbT3_lS9_S9_lSA_T4_lS9_S9_l
    .private_segment_fixed_size: 0
    .sgpr_count:     45
    .sgpr_spill_count: 0
    .symbol:         _ZN9rocsolver6v33100L11gemm_kernelI19rocblas_complex_numIfElPKS3_PS3_PKS6_S6_EEvT0_S9_S9_T1_bT2_lS9_S9_lbT3_lS9_S9_lSA_T4_lS9_S9_l.kd
    .uniform_work_group_size: 1
    .uses_dynamic_stack: false
    .vgpr_count:     18
    .vgpr_spill_count: 0
    .wavefront_size: 32
  - .args:
      - .offset:         0
        .size:           8
        .value_kind:     by_value
      - .offset:         8
        .size:           8
        .value_kind:     by_value
      - .offset:         16
        .size:           8
        .value_kind:     by_value
      - .offset:         24
        .size:           8
        .value_kind:     by_value
      - .offset:         32
        .size:           1
        .value_kind:     by_value
      - .address_space:  global
        .offset:         40
        .size:           8
        .value_kind:     global_buffer
      - .offset:         48
        .size:           8
        .value_kind:     by_value
      - .offset:         56
        .size:           8
        .value_kind:     by_value
      - .offset:         64
        .size:           8
        .value_kind:     by_value
      - .offset:         72
        .size:           8
        .value_kind:     by_value
      - .offset:         80
        .size:           1
        .value_kind:     by_value
      - .address_space:  global
        .offset:         88
        .size:           8
        .value_kind:     global_buffer
      - .offset:         96
        .size:           8
        .value_kind:     by_value
      - .offset:         104
        .size:           8
        .value_kind:     by_value
      - .offset:         112
        .size:           8
        .value_kind:     by_value
      - .offset:         120
        .size:           8
        .value_kind:     by_value
      - .offset:         128
        .size:           8
        .value_kind:     by_value
      - .address_space:  global
        .offset:         136
        .size:           8
        .value_kind:     global_buffer
      - .offset:         144
        .size:           8
        .value_kind:     by_value
      - .offset:         152
        .size:           8
        .value_kind:     by_value
      - .offset:         160
        .size:           8
        .value_kind:     by_value
      - .offset:         168
        .size:           8
        .value_kind:     by_value
      - .offset:         176
        .size:           4
        .value_kind:     hidden_block_count_x
      - .offset:         180
        .size:           4
        .value_kind:     hidden_block_count_y
      - .offset:         184
        .size:           4
        .value_kind:     hidden_block_count_z
      - .offset:         188
        .size:           2
        .value_kind:     hidden_group_size_x
      - .offset:         190
        .size:           2
        .value_kind:     hidden_group_size_y
      - .offset:         192
        .size:           2
        .value_kind:     hidden_group_size_z
      - .offset:         194
        .size:           2
        .value_kind:     hidden_remainder_x
      - .offset:         196
        .size:           2
        .value_kind:     hidden_remainder_y
      - .offset:         198
        .size:           2
        .value_kind:     hidden_remainder_z
      - .offset:         216
        .size:           8
        .value_kind:     hidden_global_offset_x
      - .offset:         224
        .size:           8
        .value_kind:     hidden_global_offset_y
      - .offset:         232
        .size:           8
        .value_kind:     hidden_global_offset_z
      - .offset:         240
        .size:           2
        .value_kind:     hidden_grid_dims
    .group_segment_fixed_size: 0
    .kernarg_segment_align: 8
    .kernarg_segment_size: 432
    .language:       OpenCL C
    .language_version:
      - 2
      - 0
    .max_flat_workgroup_size: 1024
    .name:           _ZN9rocsolver6v33100L11gemm_kernelI19rocblas_complex_numIfElS3_PS3_PKS4_S4_EEvT0_S7_S7_T1_bT2_lS7_S7_lbT3_lS7_S7_lS8_T4_lS7_S7_l
    .private_segment_fixed_size: 0
    .sgpr_count:     33
    .sgpr_spill_count: 0
    .symbol:         _ZN9rocsolver6v33100L11gemm_kernelI19rocblas_complex_numIfElS3_PS3_PKS4_S4_EEvT0_S7_S7_T1_bT2_lS7_S7_lbT3_lS7_S7_lS8_T4_lS7_S7_l.kd
    .uniform_work_group_size: 1
    .uses_dynamic_stack: false
    .vgpr_count:     18
    .vgpr_spill_count: 0
    .wavefront_size: 32
  - .args:
      - .offset:         0
        .size:           4
        .value_kind:     by_value
      - .offset:         4
        .size:           4
        .value_kind:     by_value
      - .offset:         8
        .size:           8
        .value_kind:     by_value
      - .offset:         16
        .size:           8
        .value_kind:     by_value
      - .offset:         24
        .size:           8
        .value_kind:     by_value
      - .address_space:  global
        .offset:         32
        .size:           8
        .value_kind:     global_buffer
      - .address_space:  global
        .offset:         40
        .size:           8
        .value_kind:     global_buffer
      - .offset:         48
        .size:           8
        .value_kind:     by_value
      - .offset:         56
        .size:           8
        .value_kind:     by_value
      - .offset:         64
        .size:           8
        .value_kind:     by_value
      - .offset:         72
        .size:           8
        .value_kind:     by_value
      - .address_space:  global
        .offset:         80
        .size:           8
        .value_kind:     global_buffer
      - .offset:         88
        .size:           8
        .value_kind:     by_value
      - .offset:         96
        .size:           8
        .value_kind:     by_value
      - .offset:         104
        .size:           8
        .value_kind:     by_value
      - .offset:         112
        .size:           8
        .value_kind:     by_value
      - .address_space:  global
        .offset:         120
        .size:           8
        .value_kind:     global_buffer
      - .address_space:  global
        .offset:         128
        .size:           8
        .value_kind:     global_buffer
      - .offset:         136
        .size:           8
        .value_kind:     by_value
      - .offset:         144
        .size:           8
        .value_kind:     by_value
      - .offset:         152
        .size:           8
        .value_kind:     by_value
      - .offset:         160
        .size:           8
        .value_kind:     by_value
    .group_segment_fixed_size: 0
    .kernarg_segment_align: 8
    .kernarg_segment_size: 168
    .language:       OpenCL C
    .language_version:
      - 2
      - 0
    .max_flat_workgroup_size: 1024
    .name:           _ZN9rocsolver6v33100L16mfma_gemm_kernelI19rocblas_complex_numIfElPKS3_PS3_S6_PKS6_EEv18rocblas_operation_S9_T0_SA_SA_T1_T2_lSA_SA_lT3_lSA_SA_lSB_T4_lSA_SA_l
    .private_segment_fixed_size: 0
    .sgpr_count:     0
    .sgpr_spill_count: 0
    .symbol:         _ZN9rocsolver6v33100L16mfma_gemm_kernelI19rocblas_complex_numIfElPKS3_PS3_S6_PKS6_EEv18rocblas_operation_S9_T0_SA_SA_T1_T2_lSA_SA_lT3_lSA_SA_lSB_T4_lSA_SA_l.kd
    .uniform_work_group_size: 1
    .uses_dynamic_stack: false
    .vgpr_count:     0
    .vgpr_spill_count: 0
    .wavefront_size: 32
  - .args:
      - .offset:         0
        .size:           4
        .value_kind:     by_value
      - .offset:         4
        .size:           4
        .value_kind:     by_value
      - .offset:         8
        .size:           8
        .value_kind:     by_value
      - .offset:         16
        .size:           8
        .value_kind:     by_value
      - .offset:         24
        .size:           8
        .value_kind:     by_value
      - .offset:         32
        .size:           8
        .value_kind:     by_value
      - .address_space:  global
        .offset:         40
        .size:           8
        .value_kind:     global_buffer
      - .offset:         48
        .size:           8
        .value_kind:     by_value
      - .offset:         56
        .size:           8
        .value_kind:     by_value
      - .offset:         64
        .size:           8
        .value_kind:     by_value
      - .offset:         72
        .size:           8
        .value_kind:     by_value
      - .address_space:  global
        .offset:         80
        .size:           8
        .value_kind:     global_buffer
      - .offset:         88
        .size:           8
        .value_kind:     by_value
      - .offset:         96
        .size:           8
        .value_kind:     by_value
      - .offset:         104
        .size:           8
        .value_kind:     by_value
      - .offset:         112
        .size:           8
        .value_kind:     by_value
      - .offset:         120
        .size:           8
        .value_kind:     by_value
      - .address_space:  global
        .offset:         128
        .size:           8
        .value_kind:     global_buffer
      - .offset:         136
        .size:           8
        .value_kind:     by_value
      - .offset:         144
        .size:           8
        .value_kind:     by_value
      - .offset:         152
        .size:           8
        .value_kind:     by_value
      - .offset:         160
        .size:           8
        .value_kind:     by_value
    .group_segment_fixed_size: 0
    .kernarg_segment_align: 8
    .kernarg_segment_size: 168
    .language:       OpenCL C
    .language_version:
      - 2
      - 0
    .max_flat_workgroup_size: 1024
    .name:           _ZN9rocsolver6v33100L16mfma_gemm_kernelI19rocblas_complex_numIfElS3_PS3_S4_PKS4_EEv18rocblas_operation_S7_T0_S8_S8_T1_T2_lS8_S8_lT3_lS8_S8_lS9_T4_lS8_S8_l
    .private_segment_fixed_size: 0
    .sgpr_count:     0
    .sgpr_spill_count: 0
    .symbol:         _ZN9rocsolver6v33100L16mfma_gemm_kernelI19rocblas_complex_numIfElS3_PS3_S4_PKS4_EEv18rocblas_operation_S7_T0_S8_S8_T1_T2_lS8_S8_lT3_lS8_S8_lS9_T4_lS8_S8_l.kd
    .uniform_work_group_size: 1
    .uses_dynamic_stack: false
    .vgpr_count:     0
    .vgpr_spill_count: 0
    .wavefront_size: 32
  - .args:
      - .offset:         0
        .size:           8
        .value_kind:     by_value
      - .offset:         8
        .size:           8
        .value_kind:     by_value
      - .offset:         16
        .size:           8
        .value_kind:     by_value
      - .address_space:  global
        .offset:         24
        .size:           8
        .value_kind:     global_buffer
      - .offset:         32
        .size:           1
        .value_kind:     by_value
      - .address_space:  global
        .offset:         40
        .size:           8
        .value_kind:     global_buffer
      - .offset:         48
        .size:           8
        .value_kind:     by_value
      - .offset:         56
        .size:           8
        .value_kind:     by_value
      - .offset:         64
        .size:           8
        .value_kind:     by_value
      - .offset:         72
        .size:           8
        .value_kind:     by_value
      - .offset:         80
        .size:           1
        .value_kind:     by_value
      - .address_space:  global
        .offset:         88
        .size:           8
        .value_kind:     global_buffer
      - .offset:         96
        .size:           8
        .value_kind:     by_value
      - .offset:         104
        .size:           8
        .value_kind:     by_value
      - .offset:         112
        .size:           8
        .value_kind:     by_value
      - .offset:         120
        .size:           8
        .value_kind:     by_value
      - .address_space:  global
        .offset:         128
        .size:           8
        .value_kind:     global_buffer
      - .address_space:  global
        .offset:         136
        .size:           8
        .value_kind:     global_buffer
      - .offset:         144
        .size:           8
        .value_kind:     by_value
      - .offset:         152
        .size:           8
        .value_kind:     by_value
      - .offset:         160
        .size:           8
        .value_kind:     by_value
      - .offset:         168
        .size:           8
        .value_kind:     by_value
      - .offset:         176
        .size:           4
        .value_kind:     hidden_block_count_x
      - .offset:         180
        .size:           4
        .value_kind:     hidden_block_count_y
      - .offset:         184
        .size:           4
        .value_kind:     hidden_block_count_z
      - .offset:         188
        .size:           2
        .value_kind:     hidden_group_size_x
      - .offset:         190
        .size:           2
        .value_kind:     hidden_group_size_y
      - .offset:         192
        .size:           2
        .value_kind:     hidden_group_size_z
      - .offset:         194
        .size:           2
        .value_kind:     hidden_remainder_x
      - .offset:         196
        .size:           2
        .value_kind:     hidden_remainder_y
      - .offset:         198
        .size:           2
        .value_kind:     hidden_remainder_z
      - .offset:         216
        .size:           8
        .value_kind:     hidden_global_offset_x
      - .offset:         224
        .size:           8
        .value_kind:     hidden_global_offset_y
      - .offset:         232
        .size:           8
        .value_kind:     hidden_global_offset_z
      - .offset:         240
        .size:           2
        .value_kind:     hidden_grid_dims
    .group_segment_fixed_size: 0
    .kernarg_segment_align: 8
    .kernarg_segment_size: 432
    .language:       OpenCL C
    .language_version:
      - 2
      - 0
    .max_flat_workgroup_size: 1024
    .name:           _ZN9rocsolver6v33100L11gemm_kernelI19rocblas_complex_numIfElPKS3_PS3_S6_PKS6_EEvT0_S9_S9_T1_bT2_lS9_S9_lbT3_lS9_S9_lSA_T4_lS9_S9_l
    .private_segment_fixed_size: 0
    .sgpr_count:     45
    .sgpr_spill_count: 0
    .symbol:         _ZN9rocsolver6v33100L11gemm_kernelI19rocblas_complex_numIfElPKS3_PS3_S6_PKS6_EEvT0_S9_S9_T1_bT2_lS9_S9_lbT3_lS9_S9_lSA_T4_lS9_S9_l.kd
    .uniform_work_group_size: 1
    .uses_dynamic_stack: false
    .vgpr_count:     18
    .vgpr_spill_count: 0
    .wavefront_size: 32
  - .args:
      - .offset:         0
        .size:           8
        .value_kind:     by_value
      - .offset:         8
        .size:           8
        .value_kind:     by_value
      - .offset:         16
        .size:           8
        .value_kind:     by_value
      - .offset:         24
        .size:           8
        .value_kind:     by_value
      - .offset:         32
        .size:           1
        .value_kind:     by_value
      - .address_space:  global
        .offset:         40
        .size:           8
        .value_kind:     global_buffer
      - .offset:         48
        .size:           8
        .value_kind:     by_value
      - .offset:         56
        .size:           8
        .value_kind:     by_value
      - .offset:         64
        .size:           8
        .value_kind:     by_value
      - .offset:         72
        .size:           8
        .value_kind:     by_value
      - .offset:         80
        .size:           1
        .value_kind:     by_value
      - .address_space:  global
        .offset:         88
        .size:           8
        .value_kind:     global_buffer
      - .offset:         96
        .size:           8
        .value_kind:     by_value
      - .offset:         104
        .size:           8
        .value_kind:     by_value
      - .offset:         112
        .size:           8
        .value_kind:     by_value
      - .offset:         120
        .size:           8
        .value_kind:     by_value
      - .offset:         128
        .size:           8
        .value_kind:     by_value
      - .address_space:  global
        .offset:         136
        .size:           8
        .value_kind:     global_buffer
      - .offset:         144
        .size:           8
        .value_kind:     by_value
      - .offset:         152
        .size:           8
        .value_kind:     by_value
      - .offset:         160
        .size:           8
        .value_kind:     by_value
      - .offset:         168
        .size:           8
        .value_kind:     by_value
      - .offset:         176
        .size:           4
        .value_kind:     hidden_block_count_x
      - .offset:         180
        .size:           4
        .value_kind:     hidden_block_count_y
      - .offset:         184
        .size:           4
        .value_kind:     hidden_block_count_z
      - .offset:         188
        .size:           2
        .value_kind:     hidden_group_size_x
      - .offset:         190
        .size:           2
        .value_kind:     hidden_group_size_y
      - .offset:         192
        .size:           2
        .value_kind:     hidden_group_size_z
      - .offset:         194
        .size:           2
        .value_kind:     hidden_remainder_x
      - .offset:         196
        .size:           2
        .value_kind:     hidden_remainder_y
      - .offset:         198
        .size:           2
        .value_kind:     hidden_remainder_z
      - .offset:         216
        .size:           8
        .value_kind:     hidden_global_offset_x
      - .offset:         224
        .size:           8
        .value_kind:     hidden_global_offset_y
      - .offset:         232
        .size:           8
        .value_kind:     hidden_global_offset_z
      - .offset:         240
        .size:           2
        .value_kind:     hidden_grid_dims
    .group_segment_fixed_size: 0
    .kernarg_segment_align: 8
    .kernarg_segment_size: 432
    .language:       OpenCL C
    .language_version:
      - 2
      - 0
    .max_flat_workgroup_size: 1024
    .name:           _ZN9rocsolver6v33100L11gemm_kernelI19rocblas_complex_numIfElS3_PS3_S4_PKS4_EEvT0_S7_S7_T1_bT2_lS7_S7_lbT3_lS7_S7_lS8_T4_lS7_S7_l
    .private_segment_fixed_size: 0
    .sgpr_count:     45
    .sgpr_spill_count: 0
    .symbol:         _ZN9rocsolver6v33100L11gemm_kernelI19rocblas_complex_numIfElS3_PS3_S4_PKS4_EEvT0_S7_S7_T1_bT2_lS7_S7_lbT3_lS7_S7_lS8_T4_lS7_S7_l.kd
    .uniform_work_group_size: 1
    .uses_dynamic_stack: false
    .vgpr_count:     18
    .vgpr_spill_count: 0
    .wavefront_size: 32
amdhsa.target:   amdgcn-amd-amdhsa--gfx1250
amdhsa.version:
  - 1
  - 2
...

	.end_amdgpu_metadata
